;; amdgpu-corpus repo=ROCm/rocFFT kind=compiled arch=gfx906 opt=O3
	.text
	.amdgcn_target "amdgcn-amd-amdhsa--gfx906"
	.amdhsa_code_object_version 6
	.protected	bluestein_single_back_len150_dim1_sp_op_CI_CI ; -- Begin function bluestein_single_back_len150_dim1_sp_op_CI_CI
	.globl	bluestein_single_back_len150_dim1_sp_op_CI_CI
	.p2align	8
	.type	bluestein_single_back_len150_dim1_sp_op_CI_CI,@function
bluestein_single_back_len150_dim1_sp_op_CI_CI: ; @bluestein_single_back_len150_dim1_sp_op_CI_CI
; %bb.0:
	v_mul_u32_u24_e32 v1, 0x3334, v0
	s_load_dwordx4 s[16:19], s[4:5], 0x28
	v_lshrrev_b32_e32 v1, 16, v1
	v_mad_u64_u32 v[144:145], s[0:1], s6, 12, v[1:2]
	v_mov_b32_e32 v145, 0
	s_waitcnt lgkmcnt(0)
	v_cmp_gt_u64_e32 vcc, s[16:17], v[144:145]
	s_and_saveexec_b64 s[0:1], vcc
	s_cbranch_execz .LBB0_2
; %bb.1:
	s_load_dwordx4 s[0:3], s[4:5], 0x18
	s_load_dwordx4 s[8:11], s[4:5], 0x0
	s_mov_b32 s6, 0xaaaaaaab
	v_mul_hi_u32 v2, v144, s6
	v_mul_lo_u16_e32 v1, 5, v1
	s_waitcnt lgkmcnt(0)
	s_load_dwordx4 s[12:15], s[0:1], 0x0
	v_sub_u16_e32 v171, v0, v1
	v_lshrrev_b32_e32 v2, 3, v2
	v_mul_lo_u32 v29, v2, 12
	s_add_u32 s6, s8, 0x4b0
	s_waitcnt lgkmcnt(0)
	v_mad_u64_u32 v[0:1], s[0:1], s14, v144, 0
	v_mad_u64_u32 v[2:3], s[0:1], s12, v171, 0
	s_mul_hi_u32 s14, s12, 0x78
	s_addc_u32 s7, s9, 0
	v_mad_u64_u32 v[4:5], s[0:1], s15, v144, v[1:2]
	v_mov_b32_e32 v1, v3
	v_mad_u64_u32 v[5:6], s[0:1], s13, v171, v[1:2]
	v_mov_b32_e32 v1, v4
	v_lshlrev_b64 v[0:1], 3, v[0:1]
	v_mov_b32_e32 v3, v5
	v_mov_b32_e32 v4, s19
	v_add_co_u32_e32 v0, vcc, s18, v0
	v_lshlrev_b64 v[2:3], 3, v[2:3]
	v_addc_co_u32_e32 v1, vcc, v4, v1, vcc
	v_add_co_u32_e32 v2, vcc, v0, v2
	s_mul_i32 s0, s13, 0x78
	v_addc_co_u32_e32 v3, vcc, v1, v3, vcc
	s_add_i32 s14, s14, s0
	s_mul_i32 s15, s12, 0x78
	global_load_dwordx2 v[4:5], v[2:3], off
	v_mov_b32_e32 v6, s14
	v_add_co_u32_e32 v2, vcc, s15, v2
	v_lshlrev_b32_e32 v72, 3, v171
	v_addc_co_u32_e32 v3, vcc, v3, v6, vcc
	global_load_dwordx2 v[163:164], v72, s[8:9]
	global_load_dwordx2 v[6:7], v[2:3], off
	global_load_dwordx2 v[155:156], v72, s[8:9] offset:120
	v_mov_b32_e32 v8, s14
	v_add_co_u32_e32 v2, vcc, s15, v2
	v_addc_co_u32_e32 v3, vcc, v3, v8, vcc
	v_mov_b32_e32 v9, s14
	v_add_co_u32_e32 v8, vcc, s15, v2
	v_addc_co_u32_e32 v9, vcc, v3, v9, vcc
	v_mov_b32_e32 v11, s14
	v_add_co_u32_e32 v10, vcc, s15, v8
	global_load_dwordx2 v[147:148], v72, s[8:9] offset:240
	global_load_dwordx2 v[142:143], v72, s[8:9] offset:360
	v_addc_co_u32_e32 v11, vcc, v9, v11, vcc
	global_load_dwordx2 v[12:13], v[2:3], off
	global_load_dwordx2 v[14:15], v[8:9], off
	global_load_dwordx2 v[16:17], v[10:11], off
	global_load_dwordx2 v[136:137], v72, s[8:9] offset:480
	v_mov_b32_e32 v3, s14
	v_add_co_u32_e32 v2, vcc, s15, v10
	v_addc_co_u32_e32 v3, vcc, v11, v3, vcc
	global_load_dwordx2 v[8:9], v[2:3], off
	global_load_dwordx2 v[134:135], v72, s[8:9] offset:600
	v_mov_b32_e32 v10, s14
	v_add_co_u32_e32 v2, vcc, s15, v2
	v_or_b32_e32 v169, 0x78, v171
	v_addc_co_u32_e32 v3, vcc, v3, v10, vcc
	v_mad_u64_u32 v[10:11], s[0:1], s12, v169, 0
	global_load_dwordx2 v[18:19], v[2:3], off
	global_load_dwordx2 v[138:139], v72, s[8:9] offset:720
	v_mov_b32_e32 v22, s14
	v_add_co_u32_e32 v2, vcc, s15, v2
	v_addc_co_u32_e32 v3, vcc, v3, v22, vcc
	s_mul_hi_u32 s16, s12, 0xf0
	s_mul_i32 s17, s12, 0xf0
	v_mov_b32_e32 v167, 0xfffffbf0
	v_or_b32_e32 v172, 0x50, v171
	v_or_b32_e32 v170, 40, v171
	v_add_u32_e32 v45, 5, v171
	v_add_u32_e32 v46, 10, v171
	s_load_dwordx2 s[4:5], s[4:5], 0x38
	s_waitcnt vmcnt(7)
	v_mad_u64_u32 v[20:21], s[0:1], s13, v169, v[11:12]
	s_mul_i32 s0, s13, 0xf0
	s_add_i32 s16, s16, s0
	v_mov_b32_e32 v11, v20
	v_lshlrev_b64 v[10:11], 3, v[10:11]
	global_load_dwordx2 v[21:22], v[2:3], off
	global_load_dwordx2 v[132:133], v72, s[8:9] offset:840
	v_add_co_u32_e32 v10, vcc, v0, v10
	v_addc_co_u32_e32 v11, vcc, v1, v11, vcc
	global_load_dwordx2 v[23:24], v[10:11], off
	global_load_dwordx2 v[128:129], v72, s[8:9] offset:960
	v_mov_b32_e32 v10, s16
	v_add_co_u32_e32 v2, vcc, s17, v2
	v_addc_co_u32_e32 v3, vcc, v3, v10, vcc
	global_load_dwordx2 v[10:11], v[2:3], off
	v_mad_u64_u32 v[2:3], s[0:1], s12, v167, v[2:3]
	s_mul_i32 s0, s13, 0xfffffbf0
	global_load_dwordx2 v[130:131], v72, s[8:9] offset:1080
	s_sub_i32 s18, s0, s12
	v_add_u32_e32 v3, s18, v3
	global_load_dwordx2 v[25:26], v[2:3], off
	global_load_dwordx2 v[126:127], v72, s[8:9] offset:40
	v_mov_b32_e32 v20, s14
	v_add_co_u32_e32 v2, vcc, s15, v2
	v_addc_co_u32_e32 v3, vcc, v3, v20, vcc
	v_sub_u32_e32 v20, v144, v29
	v_mul_f32_e32 v29, v5, v164
	v_mul_u32_u24_e32 v20, 0x96, v20
	v_fmac_f32_e32 v29, v4, v163
	v_mul_f32_e32 v4, v4, v164
	v_lshlrev_b32_e32 v44, 3, v20
	v_fma_f32 v30, v5, v163, -v4
	v_mul_f32_e32 v4, v7, v156
	v_mul_f32_e32 v5, v6, v156
	v_add_u32_e32 v168, v72, v44
	v_fmac_f32_e32 v4, v6, v155
	v_fma_f32 v5, v7, v155, -v5
	global_load_dwordx2 v[27:28], v[2:3], off
	global_load_dwordx2 v[124:125], v72, s[8:9] offset:160
	ds_write_b64 v168, v[4:5] offset:120
	v_mul_f32_e32 v4, v13, v148
	v_mul_f32_e32 v5, v12, v148
	v_fmac_f32_e32 v4, v12, v147
	v_fma_f32 v5, v13, v147, -v5
	s_load_dwordx4 s[0:3], s[2:3], 0x0
	global_load_dwordx2 v[116:117], v72, s[8:9] offset:80
	global_load_dwordx2 v[153:154], v72, s[8:9] offset:280
	;; [unrolled: 1-line block ×3, first 2 shown]
	ds_write_b64 v168, v[4:5] offset:240
	s_waitcnt vmcnt(19)
	v_mul_f32_e32 v4, v15, v143
	v_mul_f32_e32 v5, v14, v143
	v_fmac_f32_e32 v4, v14, v142
	v_fma_f32 v5, v15, v142, -v5
	global_load_dwordx2 v[151:152], v72, s[8:9] offset:400
	global_load_dwordx2 v[112:113], v72, s[8:9] offset:440
	;; [unrolled: 1-line block ×3, first 2 shown]
	ds_write_b64 v168, v[4:5] offset:360
	s_waitcnt vmcnt(20)
	v_mul_f32_e32 v4, v17, v137
	v_mul_f32_e32 v5, v16, v137
	v_fmac_f32_e32 v4, v16, v136
	v_fma_f32 v5, v17, v136, -v5
	global_load_dwordx2 v[159:160], v72, s[8:9] offset:520
	global_load_dwordx2 v[108:109], v72, s[8:9] offset:560
	ds_write_b64 v168, v[4:5] offset:480
	s_waitcnt vmcnt(20)
	v_mul_f32_e32 v4, v9, v135
	v_mul_f32_e32 v5, v8, v135
	v_fmac_f32_e32 v4, v8, v134
	v_fma_f32 v5, v9, v134, -v5
	ds_write_b64 v168, v[4:5] offset:600
	s_waitcnt vmcnt(18)
	v_mul_f32_e32 v4, v19, v139
	v_mul_f32_e32 v5, v18, v139
	v_fmac_f32_e32 v4, v18, v138
	v_fma_f32 v5, v19, v138, -v5
	global_load_dwordx2 v[157:158], v72, s[8:9] offset:640
	global_load_dwordx2 v[145:146], v72, s[8:9] offset:760
	;; [unrolled: 1-line block ×3, first 2 shown]
	ds_write_b64 v168, v[4:5] offset:720
	global_load_dwordx2 v[140:141], v72, s[8:9] offset:880
	global_load_dwordx2 v[106:107], v72, s[8:9] offset:920
	;; [unrolled: 1-line block ×3, first 2 shown]
	v_add_co_u32_e32 v2, vcc, s15, v2
	v_mad_u64_u32 v[8:9], s[20:21], s12, v172, 0
	v_mov_b32_e32 v14, s14
	s_waitcnt vmcnt(22)
	v_mul_f32_e32 v4, v22, v133
	v_mul_f32_e32 v5, v21, v133
	v_fmac_f32_e32 v4, v21, v132
	v_fma_f32 v5, v22, v132, -v5
	ds_write_b64 v168, v[4:5] offset:840
	s_waitcnt vmcnt(20)
	v_mul_f32_e32 v4, v24, v129
	v_mul_f32_e32 v5, v23, v129
	v_fmac_f32_e32 v4, v23, v128
	v_fma_f32 v5, v24, v128, -v5
	global_load_dwordx2 v[149:150], v72, s[8:9] offset:1000
	global_load_dwordx2 v[104:105], v72, s[8:9] offset:1040
	ds_write_b64 v168, v[4:5] offset:960
	v_mad_u64_u32 v[23:24], s[20:21], s12, v170, 0
	s_waitcnt vmcnt(20)
	v_mul_f32_e32 v4, v11, v131
	v_mul_f32_e32 v5, v10, v131
	v_fmac_f32_e32 v4, v10, v130
	v_fma_f32 v5, v11, v130, -v5
	ds_write_b64 v168, v[4:5] offset:1080
	s_waitcnt vmcnt(18)
	v_mul_f32_e32 v4, v26, v127
	v_mul_f32_e32 v5, v25, v127
	v_fmac_f32_e32 v4, v25, v126
	v_fma_f32 v5, v26, v126, -v5
	ds_write2_b64 v168, v[29:30], v[4:5] offset1:5
	v_mov_b32_e32 v5, s14
	v_addc_co_u32_e32 v3, vcc, v3, v5, vcc
	global_load_dwordx2 v[6:7], v[2:3], off
	v_add_co_u32_e32 v2, vcc, s15, v2
	v_addc_co_u32_e32 v3, vcc, v3, v5, vcc
	v_mov_b32_e32 v5, v9
	global_load_dwordx2 v[10:11], v[2:3], off
	v_add_co_u32_e32 v2, vcc, s15, v2
	v_addc_co_u32_e32 v3, vcc, v3, v14, vcc
	s_waitcnt vmcnt(18)
	v_mul_f32_e32 v4, v28, v125
	v_fmac_f32_e32 v4, v27, v124
	v_mul_f32_e32 v27, v27, v125
	s_waitcnt vmcnt(1)
	v_mad_u64_u32 v[12:13], s[20:21], s13, v172, v[5:6]
	global_load_dwordx2 v[13:14], v[2:3], off
	v_mov_b32_e32 v5, s16
	v_mov_b32_e32 v9, v12
	v_lshlrev_b64 v[8:9], 3, v[8:9]
	v_mov_b32_e32 v12, s14
	v_add_co_u32_e32 v8, vcc, v0, v8
	v_addc_co_u32_e32 v9, vcc, v1, v9, vcc
	v_add_co_u32_e32 v2, vcc, s17, v2
	v_addc_co_u32_e32 v3, vcc, v3, v5, vcc
	global_load_dwordx2 v[15:16], v[2:3], off
	v_mov_b32_e32 v5, s14
	v_add_co_u32_e32 v2, vcc, s15, v2
	v_addc_co_u32_e32 v3, vcc, v3, v5, vcc
	global_load_dwordx2 v[17:18], v[2:3], off
	v_add_co_u32_e32 v2, vcc, s15, v2
	v_addc_co_u32_e32 v3, vcc, v3, v5, vcc
	global_load_dwordx2 v[19:20], v[2:3], off
	v_add_co_u32_e32 v2, vcc, s15, v2
	v_addc_co_u32_e32 v3, vcc, v3, v5, vcc
	v_mov_b32_e32 v5, v24
	global_load_dwordx2 v[8:9], v[8:9], off
	s_nop 0
	global_load_dwordx2 v[21:22], v[2:3], off
	global_load_dwordx2 v[161:162], v72, s[8:9] offset:1120
	v_mad_u64_u32 v[2:3], s[20:21], s12, v167, v[2:3]
	v_mad_u64_u32 v[29:30], s[12:13], s13, v170, v[5:6]
	v_add_u32_e32 v3, s18, v3
	global_load_dwordx2 v[25:26], v[2:3], off
	v_mov_b32_e32 v24, v29
	v_add_co_u32_e32 v2, vcc, s15, v2
	v_lshlrev_b64 v[23:24], 3, v[23:24]
	v_addc_co_u32_e32 v3, vcc, v3, v12, vcc
	global_load_dwordx2 v[30:31], v[2:3], off
	v_add_co_u32_e32 v0, vcc, v0, v23
	v_addc_co_u32_e32 v1, vcc, v1, v24, vcc
	global_load_dwordx2 v[0:1], v[0:1], off
	v_mov_b32_e32 v5, s16
	v_add_co_u32_e32 v2, vcc, s17, v2
	v_addc_co_u32_e32 v3, vcc, v3, v5, vcc
	global_load_dwordx2 v[23:24], v[2:3], off
	v_mov_b32_e32 v5, s14
	v_add_co_u32_e32 v2, vcc, s15, v2
	v_addc_co_u32_e32 v3, vcc, v3, v5, vcc
	global_load_dwordx2 v[32:33], v[2:3], off
	v_add_co_u32_e32 v2, vcc, s15, v2
	v_addc_co_u32_e32 v3, vcc, v3, v5, vcc
	global_load_dwordx2 v[34:35], v[2:3], off
	;; [unrolled: 3-line block ×6, first 2 shown]
	global_load_dwordx2 v[122:123], v72, s[8:9] offset:1160
	v_mul_f32_e32 v2, v7, v154
	v_fmac_f32_e32 v2, v6, v153
	v_mul_f32_e32 v3, v6, v154
	s_waitcnt vmcnt(18)
	v_mul_f32_e32 v6, v11, v152
	v_fma_f32 v3, v7, v153, -v3
	v_fmac_f32_e32 v6, v10, v151
	v_mul_f32_e32 v7, v10, v152
	s_waitcnt vmcnt(17)
	v_mul_f32_e32 v10, v14, v160
	v_fma_f32 v7, v11, v151, -v7
	v_fmac_f32_e32 v10, v13, v159
	v_mul_f32_e32 v11, v13, v160
	v_fma_f32 v11, v14, v159, -v11
	s_waitcnt vmcnt(15)
	v_mul_f32_e32 v14, v18, v141
	v_fmac_f32_e32 v14, v17, v140
	v_fma_f32 v5, v28, v124, -v27
	s_movk_i32 s12, 0xcd
	s_waitcnt vmcnt(13)
	v_mul_f32_e32 v12, v9, v158
	v_fmac_f32_e32 v12, v8, v157
	v_mul_f32_e32 v8, v8, v158
	v_fma_f32 v13, v9, v157, -v8
	v_mul_f32_e32 v8, v16, v146
	v_fmac_f32_e32 v8, v15, v145
	v_mul_f32_e32 v9, v15, v146
	v_mul_f32_e32 v15, v17, v141
	v_fma_f32 v9, v16, v145, -v9
	v_fma_f32 v15, v18, v140, -v15
	v_mul_f32_e32 v16, v20, v150
	v_mul_f32_e32 v17, v19, v150
	s_waitcnt vmcnt(11)
	v_mul_f32_e32 v18, v22, v162
	v_fmac_f32_e32 v16, v19, v149
	v_fma_f32 v17, v20, v149, -v17
	v_fmac_f32_e32 v18, v21, v161
	v_mul_f32_e32 v19, v21, v162
	s_waitcnt vmcnt(10)
	v_mul_f32_e32 v20, v26, v117
	v_mul_f32_e32 v21, v25, v117
	v_fmac_f32_e32 v20, v25, v116
	v_fma_f32 v21, v26, v116, -v21
	ds_write_b64 v168, v[20:21] offset:80
	s_waitcnt vmcnt(9)
	v_mul_f32_e32 v20, v31, v119
	v_mul_f32_e32 v21, v30, v119
	v_fmac_f32_e32 v20, v30, v118
	v_fma_f32 v21, v31, v118, -v21
	ds_write2_b64 v168, v[4:5], v[20:21] offset0:20 offset1:25
	s_waitcnt vmcnt(8)
	v_mul_f32_e32 v4, v1, v121
	v_fmac_f32_e32 v4, v0, v120
	v_mul_f32_e32 v0, v0, v121
	v_fma_f32 v5, v1, v120, -v0
	s_waitcnt vmcnt(7)
	v_mul_f32_e32 v0, v24, v113
	v_mul_f32_e32 v1, v23, v113
	v_fmac_f32_e32 v0, v23, v112
	v_fma_f32 v1, v24, v112, -v1
	ds_write2_b64 v168, v[6:7], v[0:1] offset0:50 offset1:55
	s_waitcnt vmcnt(6)
	v_mul_f32_e32 v0, v33, v109
	v_mul_f32_e32 v1, v32, v109
	v_fmac_f32_e32 v0, v32, v108
	v_fma_f32 v1, v33, v108, -v1
	ds_write2_b64 v168, v[10:11], v[0:1] offset0:65 offset1:70
	;; [unrolled: 6-line block ×6, first 2 shown]
	s_waitcnt vmcnt(0)
	v_mul_f32_e32 v0, v43, v123
	v_mul_f32_e32 v1, v42, v123
	v_fma_f32 v19, v22, v161, -v19
	v_fmac_f32_e32 v0, v42, v122
	v_fma_f32 v1, v43, v122, -v1
	ds_write2_b64 v168, v[2:3], v[4:5] offset0:35 offset1:40
	ds_write2_b64 v168, v[18:19], v[0:1] offset0:140 offset1:145
	s_waitcnt lgkmcnt(0)
	; wave barrier
	s_waitcnt lgkmcnt(0)
	ds_read2_b64 v[32:35], v168 offset1:5
	ds_read2_b64 v[0:3], v168 offset0:10 offset1:15
	ds_read2_b64 v[36:39], v168 offset0:30 offset1:35
	ds_read2_b64 v[24:27], v168 offset0:40 offset1:45
	ds_read2_b64 v[40:43], v168 offset0:60 offset1:65
	ds_read2_b64 v[28:31], v168 offset0:70 offset1:75
	ds_read2_b64 v[47:50], v168 offset0:90 offset1:95
	ds_read2_b64 v[51:54], v168 offset0:100 offset1:105
	ds_read2_b64 v[55:58], v168 offset0:120 offset1:125
	ds_read2_b64 v[59:62], v168 offset0:130 offset1:135
	ds_read2_b64 v[4:7], v168 offset0:20 offset1:25
	ds_read2_b64 v[8:11], v168 offset0:50 offset1:55
	ds_read2_b64 v[12:15], v168 offset0:80 offset1:85
	ds_read2_b64 v[16:19], v168 offset0:110 offset1:115
	ds_read2_b64 v[20:23], v168 offset0:140 offset1:145
	s_waitcnt lgkmcnt(8)
	v_add_f32_e32 v64, v40, v47
	v_fma_f32 v64, -0.5, v64, v32
	s_waitcnt lgkmcnt(6)
	v_sub_f32_e32 v65, v37, v56
	v_mov_b32_e32 v66, v64
	v_fmac_f32_e32 v66, 0x3f737871, v65
	v_sub_f32_e32 v67, v41, v48
	v_sub_f32_e32 v68, v36, v40
	;; [unrolled: 1-line block ×3, first 2 shown]
	v_fmac_f32_e32 v64, 0xbf737871, v65
	v_fmac_f32_e32 v66, 0x3f167918, v67
	v_add_f32_e32 v68, v68, v69
	v_fmac_f32_e32 v64, 0xbf167918, v67
	v_fmac_f32_e32 v66, 0x3e9e377a, v68
	;; [unrolled: 1-line block ×3, first 2 shown]
	v_add_f32_e32 v68, v36, v55
	v_fma_f32 v68, -0.5, v68, v32
	v_mov_b32_e32 v69, v68
	v_add_f32_e32 v63, v32, v36
	v_fmac_f32_e32 v69, 0xbf737871, v67
	v_sub_f32_e32 v32, v40, v36
	v_sub_f32_e32 v70, v47, v55
	v_fmac_f32_e32 v68, 0x3f737871, v67
	v_fmac_f32_e32 v69, 0x3f167918, v65
	v_add_f32_e32 v32, v32, v70
	v_fmac_f32_e32 v68, 0xbf167918, v65
	v_fmac_f32_e32 v69, 0x3e9e377a, v32
	v_fmac_f32_e32 v68, 0x3e9e377a, v32
	v_add_f32_e32 v32, v33, v37
	v_add_f32_e32 v32, v32, v41
	;; [unrolled: 1-line block ×6, first 2 shown]
	v_fma_f32 v71, -0.5, v32, v33
	v_add_f32_e32 v63, v63, v47
	v_sub_f32_e32 v32, v36, v55
	v_mov_b32_e32 v36, v71
	v_add_f32_e32 v63, v63, v55
	v_fmac_f32_e32 v36, 0xbf737871, v32
	v_sub_f32_e32 v40, v40, v47
	v_sub_f32_e32 v47, v37, v41
	;; [unrolled: 1-line block ×3, first 2 shown]
	v_fmac_f32_e32 v71, 0x3f737871, v32
	v_fmac_f32_e32 v36, 0xbf167918, v40
	v_add_f32_e32 v47, v47, v55
	v_fmac_f32_e32 v71, 0x3f167918, v40
	v_fmac_f32_e32 v36, 0x3e9e377a, v47
	v_fmac_f32_e32 v71, 0x3e9e377a, v47
	v_add_f32_e32 v47, v37, v56
	v_fma_f32 v47, -0.5, v47, v33
	v_mov_b32_e32 v74, v47
	v_fmac_f32_e32 v74, 0x3f737871, v40
	v_fmac_f32_e32 v47, 0xbf737871, v40
	v_fmac_f32_e32 v74, 0xbf167918, v32
	v_fmac_f32_e32 v47, 0x3f167918, v32
	v_add_f32_e32 v32, v2, v26
	v_add_f32_e32 v32, v32, v30
	v_sub_f32_e32 v33, v41, v37
	v_sub_f32_e32 v37, v48, v56
	v_add_f32_e32 v32, v32, v53
	v_add_f32_e32 v33, v33, v37
	s_waitcnt lgkmcnt(5)
	v_add_f32_e32 v37, v32, v61
	v_add_f32_e32 v32, v30, v53
	v_fma_f32 v40, -0.5, v32, v2
	v_fmac_f32_e32 v74, 0x3e9e377a, v33
	v_fmac_f32_e32 v47, 0x3e9e377a, v33
	v_sub_f32_e32 v32, v27, v62
	v_mov_b32_e32 v33, v40
	v_fmac_f32_e32 v33, 0x3f737871, v32
	v_sub_f32_e32 v41, v31, v54
	v_sub_f32_e32 v48, v26, v30
	;; [unrolled: 1-line block ×3, first 2 shown]
	v_fmac_f32_e32 v40, 0xbf737871, v32
	v_fmac_f32_e32 v33, 0x3f167918, v41
	v_add_f32_e32 v48, v48, v55
	v_fmac_f32_e32 v40, 0xbf167918, v41
	v_fmac_f32_e32 v33, 0x3e9e377a, v48
	;; [unrolled: 1-line block ×3, first 2 shown]
	v_add_f32_e32 v48, v26, v61
	v_fma_f32 v2, -0.5, v48, v2
	v_mov_b32_e32 v48, v2
	v_fmac_f32_e32 v48, 0xbf737871, v41
	v_fmac_f32_e32 v2, 0x3f737871, v41
	;; [unrolled: 1-line block ×4, first 2 shown]
	v_add_f32_e32 v32, v3, v27
	v_add_f32_e32 v32, v32, v31
	;; [unrolled: 1-line block ×5, first 2 shown]
	v_sub_f32_e32 v55, v30, v26
	v_sub_f32_e32 v56, v53, v61
	v_fma_f32 v65, -0.5, v32, v3
	v_add_f32_e32 v55, v55, v56
	v_sub_f32_e32 v26, v26, v61
	v_mov_b32_e32 v56, v65
	v_fmac_f32_e32 v56, 0xbf737871, v26
	v_sub_f32_e32 v30, v30, v53
	v_sub_f32_e32 v32, v27, v31
	;; [unrolled: 1-line block ×3, first 2 shown]
	v_fmac_f32_e32 v65, 0x3f737871, v26
	v_fmac_f32_e32 v56, 0xbf167918, v30
	v_add_f32_e32 v32, v32, v53
	v_fmac_f32_e32 v65, 0x3f167918, v30
	v_fmac_f32_e32 v56, 0x3e9e377a, v32
	;; [unrolled: 1-line block ×3, first 2 shown]
	v_add_f32_e32 v32, v27, v62
	v_fma_f32 v3, -0.5, v32, v3
	v_mov_b32_e32 v67, v3
	v_sub_f32_e32 v27, v31, v27
	v_sub_f32_e32 v31, v54, v62
	v_fmac_f32_e32 v3, 0xbf737871, v30
	v_fmac_f32_e32 v2, 0x3e9e377a, v55
	v_add_f32_e32 v27, v27, v31
	v_fmac_f32_e32 v3, 0x3f167918, v26
	v_fmac_f32_e32 v3, 0x3e9e377a, v27
	v_mul_f32_e32 v73, 0xbe9e377a, v2
	v_fmac_f32_e32 v67, 0x3f737871, v30
	v_fmac_f32_e32 v73, 0x3f737871, v3
	v_mul_f32_e32 v3, 0xbe9e377a, v3
	v_fmac_f32_e32 v67, 0xbf167918, v26
	v_mul_f32_e32 v26, 0x3f4f1bbd, v33
	v_mul_f32_e32 v76, 0xbf167918, v33
	v_fmac_f32_e32 v3, 0xbf737871, v2
	v_mul_f32_e32 v2, 0xbf4f1bbd, v65
	v_fmac_f32_e32 v26, 0x3f167918, v56
	;; [unrolled: 2-line block ×3, first 2 shown]
	v_fmac_f32_e32 v2, 0xbf167918, v40
	v_add_f32_e32 v32, v66, v26
	v_fmac_f32_e32 v75, 0x3f167918, v65
	v_add_f32_e32 v33, v36, v76
	v_add_f32_e32 v62, v71, v2
	v_sub_f32_e32 v65, v66, v26
	v_sub_f32_e32 v66, v36, v76
	;; [unrolled: 1-line block ×3, first 2 shown]
	v_add_f32_e32 v2, v34, v38
	v_fmac_f32_e32 v67, 0x3e9e377a, v27
	v_add_f32_e32 v2, v2, v42
	v_fmac_f32_e32 v48, 0x3e9e377a, v55
	v_mul_f32_e32 v27, 0x3f737871, v67
	v_add_f32_e32 v2, v2, v49
	v_fmac_f32_e32 v27, 0x3e9e377a, v48
	v_mul_f32_e32 v48, 0xbf737871, v48
	v_add_f32_e32 v26, v2, v57
	v_add_f32_e32 v2, v42, v49
	v_add_f32_e32 v53, v69, v27
	v_fmac_f32_e32 v48, 0x3e9e377a, v67
	v_sub_f32_e32 v67, v69, v27
	v_fma_f32 v27, -0.5, v2, v34
	v_add_f32_e32 v55, v68, v73
	v_add_f32_e32 v54, v74, v48
	v_add_f32_e32 v56, v47, v3
	v_sub_f32_e32 v73, v68, v73
	v_sub_f32_e32 v68, v74, v48
	;; [unrolled: 1-line block ×4, first 2 shown]
	v_mov_b32_e32 v47, v27
	v_add_f32_e32 v30, v63, v37
	v_sub_f32_e32 v63, v63, v37
	v_fmac_f32_e32 v47, 0x3f737871, v2
	v_sub_f32_e32 v3, v43, v50
	v_sub_f32_e32 v36, v38, v42
	;; [unrolled: 1-line block ×3, first 2 shown]
	v_fmac_f32_e32 v27, 0xbf737871, v2
	v_fmac_f32_e32 v47, 0x3f167918, v3
	v_add_f32_e32 v36, v36, v37
	v_fmac_f32_e32 v27, 0xbf167918, v3
	v_fmac_f32_e32 v47, 0x3e9e377a, v36
	;; [unrolled: 1-line block ×3, first 2 shown]
	v_add_f32_e32 v36, v38, v57
	v_fma_f32 v34, -0.5, v36, v34
	v_mov_b32_e32 v48, v34
	v_fmac_f32_e32 v48, 0xbf737871, v3
	v_fmac_f32_e32 v34, 0x3f737871, v3
	v_fmac_f32_e32 v48, 0x3f167918, v2
	v_fmac_f32_e32 v34, 0xbf167918, v2
	v_add_f32_e32 v2, v35, v39
	v_add_f32_e32 v2, v2, v43
	;; [unrolled: 1-line block ×7, first 2 shown]
	v_sub_f32_e32 v75, v64, v75
	v_sub_f32_e32 v64, v70, v41
	;; [unrolled: 1-line block ×4, first 2 shown]
	v_fma_f32 v70, -0.5, v2, v35
	v_add_f32_e32 v36, v36, v37
	v_sub_f32_e32 v2, v38, v57
	v_mov_b32_e32 v57, v70
	v_fmac_f32_e32 v48, 0x3e9e377a, v36
	v_fmac_f32_e32 v34, 0x3e9e377a, v36
	;; [unrolled: 1-line block ×3, first 2 shown]
	v_sub_f32_e32 v3, v42, v49
	v_sub_f32_e32 v36, v39, v43
	;; [unrolled: 1-line block ×3, first 2 shown]
	v_fmac_f32_e32 v70, 0x3f737871, v2
	v_fmac_f32_e32 v57, 0xbf167918, v3
	v_add_f32_e32 v36, v36, v37
	v_fmac_f32_e32 v70, 0x3f167918, v3
	v_fmac_f32_e32 v57, 0x3e9e377a, v36
	;; [unrolled: 1-line block ×3, first 2 shown]
	v_add_f32_e32 v36, v39, v58
	v_fmac_f32_e32 v35, -0.5, v36
	v_mov_b32_e32 v71, v35
	v_fmac_f32_e32 v71, 0x3f737871, v3
	v_fmac_f32_e32 v35, 0xbf737871, v3
	;; [unrolled: 1-line block ×4, first 2 shown]
	s_waitcnt lgkmcnt(3)
	v_add_f32_e32 v2, v4, v8
	s_waitcnt lgkmcnt(2)
	v_add_f32_e32 v2, v2, v12
	;; [unrolled: 2-line block ×4, first 2 shown]
	v_add_f32_e32 v2, v12, v16
	v_sub_f32_e32 v36, v43, v39
	v_sub_f32_e32 v37, v50, v58
	v_fma_f32 v41, -0.5, v2, v4
	v_add_f32_e32 v36, v36, v37
	v_sub_f32_e32 v2, v9, v21
	v_mov_b32_e32 v37, v41
	v_fmac_f32_e32 v71, 0x3e9e377a, v36
	v_fmac_f32_e32 v35, 0x3e9e377a, v36
	v_fmac_f32_e32 v37, 0x3f737871, v2
	v_sub_f32_e32 v3, v13, v17
	v_sub_f32_e32 v36, v8, v12
	;; [unrolled: 1-line block ×3, first 2 shown]
	v_fmac_f32_e32 v41, 0xbf737871, v2
	v_fmac_f32_e32 v37, 0x3f167918, v3
	v_add_f32_e32 v36, v36, v38
	v_fmac_f32_e32 v41, 0xbf167918, v3
	v_fmac_f32_e32 v37, 0x3e9e377a, v36
	;; [unrolled: 1-line block ×3, first 2 shown]
	v_add_f32_e32 v36, v8, v20
	v_fma_f32 v39, -0.5, v36, v4
	v_mov_b32_e32 v43, v39
	v_fmac_f32_e32 v43, 0xbf737871, v3
	v_fmac_f32_e32 v39, 0x3f737871, v3
	;; [unrolled: 1-line block ×4, first 2 shown]
	v_add_f32_e32 v2, v5, v9
	v_add_f32_e32 v2, v2, v13
	;; [unrolled: 1-line block ×5, first 2 shown]
	v_sub_f32_e32 v4, v12, v8
	v_sub_f32_e32 v36, v16, v20
	v_fma_f32 v49, -0.5, v2, v5
	v_add_f32_e32 v4, v4, v36
	v_sub_f32_e32 v2, v8, v20
	v_mov_b32_e32 v8, v49
	v_fmac_f32_e32 v43, 0x3e9e377a, v4
	v_fmac_f32_e32 v39, 0x3e9e377a, v4
	;; [unrolled: 1-line block ×3, first 2 shown]
	v_sub_f32_e32 v3, v12, v16
	v_sub_f32_e32 v4, v9, v13
	;; [unrolled: 1-line block ×3, first 2 shown]
	v_fmac_f32_e32 v49, 0x3f737871, v2
	v_fmac_f32_e32 v8, 0xbf167918, v3
	v_add_f32_e32 v4, v4, v12
	v_fmac_f32_e32 v49, 0x3f167918, v3
	v_fmac_f32_e32 v8, 0x3e9e377a, v4
	;; [unrolled: 1-line block ×3, first 2 shown]
	v_add_f32_e32 v4, v9, v21
	v_fma_f32 v12, -0.5, v4, v5
	v_mov_b32_e32 v16, v12
	v_fmac_f32_e32 v16, 0x3f737871, v3
	v_sub_f32_e32 v4, v13, v9
	v_sub_f32_e32 v5, v17, v21
	v_fmac_f32_e32 v16, 0xbf167918, v2
	v_add_f32_e32 v4, v4, v5
	v_mul_f32_e32 v9, 0x3f4f1bbd, v37
	v_mul_f32_e32 v21, 0xbf167918, v37
	v_fmac_f32_e32 v16, 0x3e9e377a, v4
	v_fmac_f32_e32 v9, 0x3f167918, v8
	;; [unrolled: 1-line block ×3, first 2 shown]
	v_mul_f32_e32 v8, 0xbf737871, v43
	v_mul_f32_e32 v13, 0x3f737871, v16
	v_fmac_f32_e32 v8, 0x3e9e377a, v16
	v_fmac_f32_e32 v12, 0xbf737871, v3
	;; [unrolled: 1-line block ×3, first 2 shown]
	v_add_f32_e32 v3, v69, v50
	v_add_f32_e32 v37, v71, v8
	v_sub_f32_e32 v43, v69, v50
	v_sub_f32_e32 v50, v71, v8
	v_add_f32_e32 v8, v0, v24
	v_mul_f32_e32 v20, 0xbf4f1bbd, v41
	v_add_f32_e32 v8, v8, v28
	v_fmac_f32_e32 v12, 0x3f167918, v2
	v_fmac_f32_e32 v20, 0x3f167918, v49
	v_add_f32_e32 v8, v8, v51
	v_fmac_f32_e32 v12, 0x3e9e377a, v4
	v_mul_f32_e32 v17, 0xbe9e377a, v39
	v_add_f32_e32 v40, v27, v20
	v_sub_f32_e32 v79, v27, v20
	v_add_f32_e32 v20, v8, v59
	v_add_f32_e32 v8, v28, v51
	;; [unrolled: 1-line block ×3, first 2 shown]
	v_fmac_f32_e32 v17, 0x3f737871, v12
	v_add_f32_e32 v5, v57, v21
	v_mul_f32_e32 v12, 0xbe9e377a, v12
	v_mul_f32_e32 v16, 0xbf4f1bbd, v49
	v_sub_f32_e32 v49, v48, v13
	v_sub_f32_e32 v48, v57, v21
	v_fma_f32 v21, -0.5, v8, v0
	v_add_f32_e32 v2, v26, v42
	v_fmac_f32_e32 v12, 0xbf737871, v39
	v_sub_f32_e32 v42, v26, v42
	v_sub_f32_e32 v8, v25, v60
	v_mov_b32_e32 v26, v21
	v_add_f32_e32 v4, v47, v9
	v_add_f32_e32 v39, v35, v12
	v_sub_f32_e32 v47, v47, v9
	v_sub_f32_e32 v78, v35, v12
	v_fmac_f32_e32 v26, 0x3f737871, v8
	v_sub_f32_e32 v9, v29, v52
	v_sub_f32_e32 v12, v24, v28
	;; [unrolled: 1-line block ×3, first 2 shown]
	v_fmac_f32_e32 v21, 0xbf737871, v8
	v_fmac_f32_e32 v26, 0x3f167918, v9
	v_add_f32_e32 v12, v12, v13
	v_fmac_f32_e32 v21, 0xbf167918, v9
	v_fmac_f32_e32 v26, 0x3e9e377a, v12
	;; [unrolled: 1-line block ×3, first 2 shown]
	v_add_f32_e32 v12, v24, v59
	v_fma_f32 v0, -0.5, v12, v0
	v_mov_b32_e32 v27, v0
	v_fmac_f32_e32 v27, 0xbf737871, v9
	v_fmac_f32_e32 v0, 0x3f737871, v9
	;; [unrolled: 1-line block ×4, first 2 shown]
	v_add_f32_e32 v8, v1, v25
	v_add_f32_e32 v8, v8, v29
	v_add_f32_e32 v8, v8, v52
	v_add_f32_e32 v38, v34, v17
	v_sub_f32_e32 v77, v34, v17
	v_add_f32_e32 v34, v8, v60
	v_add_f32_e32 v8, v29, v52
	v_sub_f32_e32 v12, v28, v24
	v_sub_f32_e32 v13, v51, v59
	v_fma_f32 v35, -0.5, v8, v1
	v_add_f32_e32 v12, v12, v13
	v_sub_f32_e32 v8, v24, v59
	v_mov_b32_e32 v57, v35
	v_fmac_f32_e32 v27, 0x3e9e377a, v12
	v_fmac_f32_e32 v0, 0x3e9e377a, v12
	;; [unrolled: 1-line block ×3, first 2 shown]
	v_sub_f32_e32 v9, v28, v51
	v_sub_f32_e32 v12, v25, v29
	;; [unrolled: 1-line block ×3, first 2 shown]
	v_fmac_f32_e32 v35, 0x3f737871, v8
	v_fmac_f32_e32 v57, 0xbf167918, v9
	v_add_f32_e32 v12, v12, v13
	v_fmac_f32_e32 v35, 0x3f167918, v9
	v_fmac_f32_e32 v57, 0x3e9e377a, v12
	;; [unrolled: 1-line block ×3, first 2 shown]
	v_add_f32_e32 v12, v25, v60
	v_fmac_f32_e32 v1, -0.5, v12
	v_mov_b32_e32 v28, v1
	v_fmac_f32_e32 v28, 0x3f737871, v9
	v_fmac_f32_e32 v1, 0xbf737871, v9
	;; [unrolled: 1-line block ×4, first 2 shown]
	v_add_f32_e32 v8, v6, v10
	v_add_f32_e32 v8, v8, v14
	;; [unrolled: 1-line block ×5, first 2 shown]
	v_sub_f32_e32 v12, v29, v25
	v_sub_f32_e32 v13, v52, v60
	v_fma_f32 v17, -0.5, v8, v6
	v_fmac_f32_e32 v16, 0xbf167918, v41
	v_add_f32_e32 v12, v12, v13
	v_sub_f32_e32 v8, v11, v23
	v_mov_b32_e32 v13, v17
	v_add_f32_e32 v41, v70, v16
	v_sub_f32_e32 v80, v70, v16
	v_fmac_f32_e32 v28, 0x3e9e377a, v12
	v_fmac_f32_e32 v1, 0x3e9e377a, v12
	;; [unrolled: 1-line block ×3, first 2 shown]
	v_sub_f32_e32 v9, v15, v19
	v_sub_f32_e32 v12, v10, v14
	;; [unrolled: 1-line block ×3, first 2 shown]
	v_fmac_f32_e32 v17, 0xbf737871, v8
	v_fmac_f32_e32 v13, 0x3f167918, v9
	v_add_f32_e32 v12, v12, v16
	v_fmac_f32_e32 v17, 0xbf167918, v9
	v_fmac_f32_e32 v13, 0x3e9e377a, v12
	;; [unrolled: 1-line block ×3, first 2 shown]
	v_add_f32_e32 v12, v10, v22
	v_fma_f32 v6, -0.5, v12, v6
	v_mov_b32_e32 v25, v6
	v_fmac_f32_e32 v25, 0xbf737871, v9
	v_fmac_f32_e32 v6, 0x3f737871, v9
	;; [unrolled: 1-line block ×4, first 2 shown]
	v_add_f32_e32 v8, v7, v11
	v_add_f32_e32 v8, v8, v15
	;; [unrolled: 1-line block ×5, first 2 shown]
	v_sub_f32_e32 v12, v14, v10
	v_sub_f32_e32 v16, v18, v22
	v_fma_f32 v51, -0.5, v8, v7
	v_add_f32_e32 v12, v12, v16
	v_sub_f32_e32 v8, v10, v22
	v_mov_b32_e32 v22, v51
	v_fmac_f32_e32 v25, 0x3e9e377a, v12
	v_fmac_f32_e32 v6, 0x3e9e377a, v12
	;; [unrolled: 1-line block ×3, first 2 shown]
	v_sub_f32_e32 v9, v14, v18
	v_sub_f32_e32 v10, v11, v15
	;; [unrolled: 1-line block ×3, first 2 shown]
	v_fmac_f32_e32 v51, 0x3f737871, v8
	v_fmac_f32_e32 v22, 0xbf167918, v9
	v_add_f32_e32 v10, v10, v12
	v_fmac_f32_e32 v51, 0x3f167918, v9
	v_fmac_f32_e32 v22, 0x3e9e377a, v10
	;; [unrolled: 1-line block ×3, first 2 shown]
	v_add_f32_e32 v10, v11, v23
	v_fmac_f32_e32 v7, -0.5, v10
	v_mov_b32_e32 v18, v7
	v_fmac_f32_e32 v18, 0x3f737871, v9
	v_sub_f32_e32 v10, v15, v11
	v_sub_f32_e32 v11, v19, v23
	v_fmac_f32_e32 v18, 0xbf167918, v8
	v_add_f32_e32 v10, v10, v11
	v_fmac_f32_e32 v7, 0xbf737871, v9
	v_fmac_f32_e32 v18, 0x3e9e377a, v10
	;; [unrolled: 1-line block ×4, first 2 shown]
	v_mul_f32_e32 v23, 0x3f737871, v18
	v_mul_f32_e32 v52, 0xbe9e377a, v6
	v_fmac_f32_e32 v23, 0x3e9e377a, v25
	v_fmac_f32_e32 v52, 0x3f737871, v7
	v_mul_f32_e32 v25, 0xbf737871, v25
	v_add_f32_e32 v8, v20, v24
	v_add_f32_e32 v14, v0, v52
	v_fmac_f32_e32 v25, 0x3e9e377a, v18
	v_sub_f32_e32 v18, v20, v24
	v_sub_f32_e32 v24, v0, v52
	v_mul_lo_u16_e32 v0, 10, v171
	v_mul_f32_e32 v19, 0x3f4f1bbd, v13
	v_mul_f32_e32 v59, 0xbf167918, v13
	;; [unrolled: 1-line block ×3, first 2 shown]
	v_lshl_add_u32 v173, v0, 3, v44
	v_mul_u32_u24_e32 v0, 10, v45
	v_fmac_f32_e32 v19, 0x3f167918, v22
	v_mul_f32_e32 v58, 0xbf4f1bbd, v17
	v_fmac_f32_e32 v59, 0x3f4f1bbd, v22
	v_fmac_f32_e32 v7, 0xbf737871, v6
	v_mul_f32_e32 v6, 0xbf4f1bbd, v51
	v_lshl_add_u32 v174, v0, 3, v44
	v_mul_u32_u24_e32 v0, 10, v46
	v_add_f32_e32 v10, v26, v19
	v_fmac_f32_e32 v58, 0x3f167918, v51
	v_add_f32_e32 v9, v34, v29
	v_add_f32_e32 v11, v57, v59
	v_fmac_f32_e32 v6, 0xbf167918, v17
	v_lshl_add_u32 v175, v0, 3, v44
	v_lshlrev_b32_e32 v0, 5, v171
	v_add_f32_e32 v12, v27, v23
	v_add_f32_e32 v16, v21, v58
	;; [unrolled: 1-line block ×5, first 2 shown]
	v_sub_f32_e32 v20, v26, v19
	v_sub_f32_e32 v22, v27, v23
	;; [unrolled: 1-line block ×8, first 2 shown]
	s_waitcnt lgkmcnt(0)
	; wave barrier
	ds_write_b128 v173, v[30:33]
	ds_write_b128 v173, v[53:56] offset:16
	ds_write_b128 v173, v[61:64] offset:32
	ds_write_b128 v173, v[65:68] offset:48
	ds_write_b128 v173, v[73:76] offset:64
	ds_write_b128 v174, v[2:5]
	ds_write_b128 v174, v[36:39] offset:16
	ds_write_b128 v174, v[40:43] offset:32
	ds_write_b128 v174, v[47:50] offset:48
	ds_write_b128 v174, v[77:80] offset:64
	;; [unrolled: 5-line block ×3, first 2 shown]
	s_waitcnt lgkmcnt(0)
	; wave barrier
	s_waitcnt lgkmcnt(0)
	global_load_dwordx4 v[8:11], v0, s[10:11]
	s_nop 0
	global_load_dwordx4 v[0:3], v0, s[10:11] offset:16
	v_lshlrev_b32_e32 v16, 5, v45
	global_load_dwordx4 v[12:15], v16, s[10:11]
	global_load_dwordx4 v[4:7], v16, s[10:11] offset:16
	v_add_co_u32_e32 v48, vcc, 20, v171
	v_mul_lo_u16_sdwa v16, v48, s12 dst_sel:DWORD dst_unused:UNUSED_PAD src0_sel:BYTE_0 src1_sel:DWORD
	v_lshrrev_b16_e32 v16, 11, v16
	v_mul_lo_u16_e32 v16, 10, v16
	v_add_co_u32_e32 v52, vcc, 25, v171
	v_sub_u16_e32 v47, v48, v16
	v_lshlrev_b16_e32 v16, 2, v47
	v_mul_lo_u16_sdwa v24, v52, s12 dst_sel:DWORD dst_unused:UNUSED_PAD src0_sel:BYTE_0 src1_sel:DWORD
	v_and_b32_e32 v16, 0xfc, v16
	v_lshrrev_b16_e32 v24, 11, v24
	v_lshlrev_b32_e32 v20, 3, v16
	v_mul_lo_u16_e32 v24, 10, v24
	ds_read2_b64 v[36:39], v168 offset1:5
	ds_read2_b64 v[53:56], v168 offset0:30 offset1:35
	ds_read2_b64 v[57:60], v168 offset0:60 offset1:65
	;; [unrolled: 1-line block ×8, first 2 shown]
	global_load_dwordx4 v[16:19], v20, s[10:11] offset:16
	s_nop 0
	global_load_dwordx4 v[20:23], v20, s[10:11]
	v_sub_u16_e32 v49, v52, v24
	v_lshlrev_b16_e32 v24, 2, v49
	v_and_b32_e32 v24, 0xfc, v24
	v_lshlrev_b32_e32 v28, 3, v24
	ds_read2_b64 v[89:92], v168 offset0:130 offset1:135
	ds_read2_b64 v[40:43], v168 offset0:20 offset1:25
	;; [unrolled: 1-line block ×6, first 2 shown]
	global_load_dwordx4 v[24:27], v28, s[10:11] offset:16
	s_nop 0
	global_load_dwordx4 v[28:31], v28, s[10:11]
	s_waitcnt lgkmcnt(0)
	; wave barrier
	s_waitcnt lgkmcnt(0)
	v_lshlrev_b32_e32 v68, 4, v171
	v_lshlrev_b32_e32 v48, 4, v48
	;; [unrolled: 1-line block ×3, first 2 shown]
	s_waitcnt vmcnt(7)
	v_mul_f32_e32 v50, v54, v9
	v_fma_f32 v65, v53, v8, -v50
	v_mul_f32_e32 v50, v58, v11
	v_fma_f32 v67, v57, v10, -v50
	v_mul_f32_e32 v69, v57, v11
	s_waitcnt vmcnt(6)
	v_mul_f32_e32 v50, v62, v1
	v_fmac_f32_e32 v69, v58, v10
	v_fma_f32 v58, v61, v0, -v50
	v_mul_f32_e32 v61, v61, v1
	v_mul_f32_e32 v50, v74, v3
	v_fmac_f32_e32 v61, v62, v0
	v_fma_f32 v62, v73, v2, -v50
	s_waitcnt vmcnt(5)
	v_mul_f32_e32 v50, v56, v13
	v_mul_f32_e32 v70, v73, v3
	v_fma_f32 v71, v55, v12, -v50
	v_mul_f32_e32 v50, v60, v15
	v_fmac_f32_e32 v70, v74, v2
	v_fma_f32 v74, v59, v14, -v50
	s_waitcnt vmcnt(4)
	v_mul_f32_e32 v50, v64, v5
	v_fma_f32 v102, v63, v4, -v50
	v_mul_f32_e32 v103, v63, v5
	v_mul_f32_e32 v50, v76, v7
	v_fmac_f32_e32 v103, v64, v4
	v_fma_f32 v64, v75, v6, -v50
	v_mul_f32_e32 v75, v75, v7
	v_mul_f32_e32 v50, v78, v9
	v_fmac_f32_e32 v75, v76, v6
	;; [unrolled: 4-line block ×6, first 2 shown]
	v_fma_f32 v90, v79, v12, -v50
	v_mul_f32_e32 v50, v84, v15
	v_fma_f32 v184, v83, v14, -v50
	v_mul_f32_e32 v50, v88, v5
	v_mul_f32_e32 v185, v83, v15
	v_fma_f32 v186, v87, v4, -v50
	v_mul_f32_e32 v87, v87, v5
	v_mul_f32_e32 v50, v92, v7
	v_fmac_f32_e32 v185, v84, v14
	v_fmac_f32_e32 v87, v88, v4
	v_fma_f32 v84, v91, v6, -v50
	v_mul_f32_e32 v88, v91, v7
	s_waitcnt vmcnt(2)
	v_mul_f32_e32 v50, v94, v21
	v_fmac_f32_e32 v88, v92, v6
	v_fma_f32 v92, v93, v20, -v50
	v_mul_f32_e32 v187, v93, v21
	v_mul_f32_e32 v50, v98, v23
	;; [unrolled: 1-line block ×3, first 2 shown]
	v_fmac_f32_e32 v187, v94, v20
	v_fma_f32 v94, v97, v22, -v50
	v_mul_f32_e32 v97, v97, v23
	v_mul_f32_e32 v50, v177, v17
	v_add_f32_e32 v51, v67, v58
	v_fmac_f32_e32 v66, v54, v8
	v_fmac_f32_e32 v97, v98, v22
	v_fma_f32 v98, v176, v16, -v50
	v_mul_f32_e32 v176, v176, v17
	v_mul_f32_e32 v50, v181, v19
	v_fma_f32 v53, -0.5, v51, v36
	v_mul_f32_e32 v73, v55, v13
	v_fmac_f32_e32 v176, v177, v16
	v_fma_f32 v177, v180, v18, -v50
	v_mul_f32_e32 v180, v180, v19
	s_waitcnt vmcnt(0)
	v_mul_f32_e32 v50, v96, v29
	v_sub_f32_e32 v51, v66, v70
	v_mov_b32_e32 v55, v53
	v_fmac_f32_e32 v73, v56, v12
	v_fmac_f32_e32 v180, v181, v18
	v_fma_f32 v181, v95, v28, -v50
	v_mul_f32_e32 v50, v100, v31
	v_fmac_f32_e32 v55, 0x3f737871, v51
	v_sub_f32_e32 v54, v69, v61
	v_sub_f32_e32 v56, v65, v67
	;; [unrolled: 1-line block ×3, first 2 shown]
	v_fmac_f32_e32 v53, 0xbf737871, v51
	v_fma_f32 v189, v99, v30, -v50
	v_mul_f32_e32 v50, v179, v25
	v_fmac_f32_e32 v55, 0x3f167918, v54
	v_add_f32_e32 v56, v56, v57
	v_fmac_f32_e32 v53, 0xbf167918, v54
	v_mul_f32_e32 v190, v99, v31
	v_fma_f32 v191, v178, v24, -v50
	v_mul_f32_e32 v50, v183, v27
	v_fmac_f32_e32 v55, 0x3e9e377a, v56
	v_fmac_f32_e32 v53, 0x3e9e377a, v56
	v_add_f32_e32 v56, v65, v62
	v_fmac_f32_e32 v190, v100, v30
	v_fma_f32 v100, v182, v26, -v50
	v_add_f32_e32 v50, v36, v65
	v_fma_f32 v36, -0.5, v56, v36
	v_mov_b32_e32 v57, v36
	v_mul_f32_e32 v101, v59, v15
	v_fmac_f32_e32 v57, 0xbf737871, v54
	v_sub_f32_e32 v56, v67, v65
	v_sub_f32_e32 v59, v58, v62
	v_fmac_f32_e32 v36, 0x3f737871, v54
	v_add_f32_e32 v54, v69, v61
	v_add_f32_e32 v50, v50, v67
	v_fmac_f32_e32 v57, 0x3f167918, v51
	v_add_f32_e32 v56, v56, v59
	v_fmac_f32_e32 v36, 0xbf167918, v51
	v_fma_f32 v54, -0.5, v54, v37
	v_add_f32_e32 v50, v50, v58
	v_fmac_f32_e32 v57, 0x3e9e377a, v56
	v_fmac_f32_e32 v36, 0x3e9e377a, v56
	v_sub_f32_e32 v59, v65, v62
	v_mov_b32_e32 v56, v54
	v_fmac_f32_e32 v101, v60, v14
	v_add_f32_e32 v50, v50, v62
	v_fmac_f32_e32 v56, 0xbf737871, v59
	v_sub_f32_e32 v60, v67, v58
	v_sub_f32_e32 v58, v66, v69
	;; [unrolled: 1-line block ×3, first 2 shown]
	v_fmac_f32_e32 v54, 0x3f737871, v59
	v_fmac_f32_e32 v56, 0xbf167918, v60
	v_add_f32_e32 v58, v58, v62
	v_fmac_f32_e32 v54, 0x3f167918, v60
	v_fmac_f32_e32 v56, 0x3e9e377a, v58
	;; [unrolled: 1-line block ×3, first 2 shown]
	v_add_f32_e32 v58, v66, v70
	v_add_f32_e32 v51, v37, v66
	v_fma_f32 v37, -0.5, v58, v37
	v_add_f32_e32 v51, v51, v69
	v_mov_b32_e32 v58, v37
	v_add_f32_e32 v51, v51, v61
	v_fmac_f32_e32 v58, 0x3f737871, v60
	v_sub_f32_e32 v62, v69, v66
	v_sub_f32_e32 v61, v61, v70
	v_fmac_f32_e32 v37, 0xbf737871, v60
	v_fmac_f32_e32 v58, 0xbf167918, v59
	v_add_f32_e32 v61, v62, v61
	v_fmac_f32_e32 v37, 0x3f167918, v59
	v_add_f32_e32 v60, v74, v102
	v_fmac_f32_e32 v58, 0x3e9e377a, v61
	v_fmac_f32_e32 v37, 0x3e9e377a, v61
	v_fma_f32 v61, -0.5, v60, v38
	v_sub_f32_e32 v60, v73, v75
	v_mov_b32_e32 v63, v61
	v_fmac_f32_e32 v63, 0x3f737871, v60
	v_sub_f32_e32 v62, v101, v103
	v_sub_f32_e32 v65, v71, v74
	;; [unrolled: 1-line block ×3, first 2 shown]
	v_fmac_f32_e32 v61, 0xbf737871, v60
	v_fmac_f32_e32 v63, 0x3f167918, v62
	v_add_f32_e32 v65, v65, v66
	v_fmac_f32_e32 v61, 0xbf167918, v62
	v_fmac_f32_e32 v63, 0x3e9e377a, v65
	;; [unrolled: 1-line block ×3, first 2 shown]
	v_add_f32_e32 v65, v71, v64
	v_add_f32_e32 v59, v38, v71
	v_fma_f32 v38, -0.5, v65, v38
	v_mov_b32_e32 v65, v38
	v_add_f32_e32 v59, v59, v74
	v_fmac_f32_e32 v65, 0xbf737871, v62
	v_fmac_f32_e32 v38, 0x3f737871, v62
	v_add_f32_e32 v62, v101, v103
	v_add_f32_e32 v59, v59, v102
	v_sub_f32_e32 v66, v74, v71
	v_sub_f32_e32 v67, v102, v64
	v_fma_f32 v62, -0.5, v62, v39
	v_add_f32_e32 v59, v59, v64
	v_fmac_f32_e32 v65, 0x3f167918, v60
	v_add_f32_e32 v66, v66, v67
	v_fmac_f32_e32 v38, 0xbf167918, v60
	v_sub_f32_e32 v67, v71, v64
	v_mov_b32_e32 v64, v62
	v_add_f32_e32 v51, v51, v70
	v_fmac_f32_e32 v65, 0x3e9e377a, v66
	v_fmac_f32_e32 v38, 0x3e9e377a, v66
	;; [unrolled: 1-line block ×3, first 2 shown]
	v_sub_f32_e32 v69, v74, v102
	v_sub_f32_e32 v66, v73, v101
	;; [unrolled: 1-line block ×3, first 2 shown]
	v_fmac_f32_e32 v62, 0x3f737871, v67
	v_fmac_f32_e32 v64, 0xbf167918, v69
	v_add_f32_e32 v66, v66, v70
	v_fmac_f32_e32 v62, 0x3f167918, v69
	v_fmac_f32_e32 v64, 0x3e9e377a, v66
	;; [unrolled: 1-line block ×3, first 2 shown]
	v_add_f32_e32 v66, v73, v75
	v_add_f32_e32 v60, v39, v73
	v_fmac_f32_e32 v39, -0.5, v66
	v_mov_b32_e32 v66, v39
	v_fmac_f32_e32 v66, 0x3f737871, v69
	v_fmac_f32_e32 v39, 0xbf737871, v69
	;; [unrolled: 1-line block ×4, first 2 shown]
	v_add_f32_e32 v67, v32, v76
	v_add_f32_e32 v67, v67, v78
	;; [unrolled: 1-line block ×7, first 2 shown]
	v_sub_f32_e32 v70, v101, v73
	v_sub_f32_e32 v71, v103, v75
	v_fma_f32 v73, -0.5, v67, v32
	v_add_f32_e32 v60, v60, v75
	v_add_f32_e32 v70, v70, v71
	v_sub_f32_e32 v67, v165, v89
	v_mov_b32_e32 v75, v73
	v_fmac_f32_e32 v66, 0x3e9e377a, v70
	v_fmac_f32_e32 v39, 0x3e9e377a, v70
	;; [unrolled: 1-line block ×3, first 2 shown]
	v_sub_f32_e32 v70, v81, v85
	v_sub_f32_e32 v71, v76, v78
	;; [unrolled: 1-line block ×3, first 2 shown]
	v_fmac_f32_e32 v73, 0xbf737871, v67
	v_fmac_f32_e32 v75, 0x3f167918, v70
	v_add_f32_e32 v71, v71, v74
	v_fmac_f32_e32 v73, 0xbf167918, v70
	v_fmac_f32_e32 v75, 0x3e9e377a, v71
	;; [unrolled: 1-line block ×3, first 2 shown]
	v_add_f32_e32 v71, v76, v86
	v_fma_f32 v32, -0.5, v71, v32
	v_mov_b32_e32 v77, v32
	v_fmac_f32_e32 v77, 0xbf737871, v70
	v_fmac_f32_e32 v32, 0x3f737871, v70
	;; [unrolled: 1-line block ×4, first 2 shown]
	v_add_f32_e32 v67, v33, v165
	v_add_f32_e32 v67, v67, v81
	;; [unrolled: 1-line block ×3, first 2 shown]
	v_sub_f32_e32 v71, v78, v76
	v_sub_f32_e32 v74, v82, v86
	v_add_f32_e32 v70, v67, v89
	v_add_f32_e32 v67, v81, v85
	;; [unrolled: 1-line block ×3, first 2 shown]
	v_fma_f32 v74, -0.5, v67, v33
	v_sub_f32_e32 v67, v76, v86
	v_mov_b32_e32 v76, v74
	v_mul_f32_e32 v166, v79, v13
	v_fmac_f32_e32 v77, 0x3e9e377a, v71
	v_fmac_f32_e32 v32, 0x3e9e377a, v71
	v_fmac_f32_e32 v76, 0xbf737871, v67
	v_sub_f32_e32 v71, v78, v82
	v_sub_f32_e32 v78, v165, v81
	;; [unrolled: 1-line block ×3, first 2 shown]
	v_fmac_f32_e32 v74, 0x3f737871, v67
	v_fmac_f32_e32 v76, 0xbf167918, v71
	v_add_f32_e32 v78, v78, v79
	v_fmac_f32_e32 v74, 0x3f167918, v71
	v_fmac_f32_e32 v76, 0x3e9e377a, v78
	;; [unrolled: 1-line block ×3, first 2 shown]
	v_add_f32_e32 v78, v165, v89
	v_fma_f32 v33, -0.5, v78, v33
	v_mov_b32_e32 v78, v33
	v_fmac_f32_e32 v78, 0x3f737871, v71
	v_fmac_f32_e32 v33, 0xbf737871, v71
	;; [unrolled: 1-line block ×4, first 2 shown]
	v_add_f32_e32 v67, v34, v90
	v_fmac_f32_e32 v166, v80, v12
	v_sub_f32_e32 v79, v81, v165
	v_sub_f32_e32 v80, v85, v89
	v_add_f32_e32 v67, v67, v184
	v_add_f32_e32 v79, v79, v80
	;; [unrolled: 1-line block ×3, first 2 shown]
	v_fmac_f32_e32 v78, 0x3e9e377a, v79
	v_fmac_f32_e32 v33, 0x3e9e377a, v79
	v_add_f32_e32 v79, v67, v84
	v_add_f32_e32 v67, v184, v186
	v_fma_f32 v81, -0.5, v67, v34
	v_sub_f32_e32 v67, v166, v88
	v_mov_b32_e32 v83, v81
	v_fmac_f32_e32 v83, 0x3f737871, v67
	v_sub_f32_e32 v71, v185, v87
	v_sub_f32_e32 v80, v90, v184
	v_sub_f32_e32 v82, v84, v186
	v_fmac_f32_e32 v81, 0xbf737871, v67
	v_fmac_f32_e32 v83, 0x3f167918, v71
	v_add_f32_e32 v80, v80, v82
	v_fmac_f32_e32 v81, 0xbf167918, v71
	v_fmac_f32_e32 v83, 0x3e9e377a, v80
	;; [unrolled: 1-line block ×3, first 2 shown]
	v_add_f32_e32 v80, v90, v84
	v_fma_f32 v34, -0.5, v80, v34
	v_mov_b32_e32 v85, v34
	v_fmac_f32_e32 v85, 0xbf737871, v71
	v_fmac_f32_e32 v34, 0x3f737871, v71
	;; [unrolled: 1-line block ×4, first 2 shown]
	v_add_f32_e32 v67, v35, v166
	v_sub_f32_e32 v80, v184, v90
	v_sub_f32_e32 v82, v186, v84
	v_add_f32_e32 v67, v67, v185
	v_add_f32_e32 v80, v80, v82
	;; [unrolled: 1-line block ×3, first 2 shown]
	v_fmac_f32_e32 v85, 0x3e9e377a, v80
	v_fmac_f32_e32 v34, 0x3e9e377a, v80
	v_add_f32_e32 v80, v67, v88
	v_add_f32_e32 v67, v185, v87
	v_fma_f32 v82, -0.5, v67, v35
	v_sub_f32_e32 v67, v90, v84
	v_mov_b32_e32 v84, v82
	v_fmac_f32_e32 v84, 0xbf737871, v67
	v_sub_f32_e32 v71, v184, v186
	v_sub_f32_e32 v86, v166, v185
	;; [unrolled: 1-line block ×3, first 2 shown]
	v_fmac_f32_e32 v82, 0x3f737871, v67
	v_fmac_f32_e32 v84, 0xbf167918, v71
	v_add_f32_e32 v86, v86, v89
	v_fmac_f32_e32 v82, 0x3f167918, v71
	v_fmac_f32_e32 v84, 0x3e9e377a, v86
	;; [unrolled: 1-line block ×3, first 2 shown]
	v_add_f32_e32 v86, v166, v88
	v_fmac_f32_e32 v35, -0.5, v86
	v_mov_b32_e32 v86, v35
	v_fmac_f32_e32 v86, 0x3f737871, v71
	v_fmac_f32_e32 v35, 0xbf737871, v71
	;; [unrolled: 1-line block ×4, first 2 shown]
	v_add_f32_e32 v67, v40, v92
	v_sub_f32_e32 v89, v185, v166
	v_sub_f32_e32 v87, v87, v88
	v_add_f32_e32 v67, v67, v94
	v_add_f32_e32 v87, v89, v87
	;; [unrolled: 1-line block ×3, first 2 shown]
	v_fmac_f32_e32 v86, 0x3e9e377a, v87
	v_fmac_f32_e32 v35, 0x3e9e377a, v87
	v_add_f32_e32 v87, v67, v177
	v_add_f32_e32 v67, v94, v98
	v_fma_f32 v89, -0.5, v67, v40
	v_sub_f32_e32 v67, v187, v180
	v_mov_b32_e32 v91, v89
	v_fmac_f32_e32 v91, 0x3f737871, v67
	v_sub_f32_e32 v71, v97, v176
	v_sub_f32_e32 v88, v92, v94
	;; [unrolled: 1-line block ×3, first 2 shown]
	v_fmac_f32_e32 v89, 0xbf737871, v67
	v_fmac_f32_e32 v91, 0x3f167918, v71
	v_add_f32_e32 v88, v88, v90
	v_fmac_f32_e32 v89, 0xbf167918, v71
	v_fmac_f32_e32 v91, 0x3e9e377a, v88
	;; [unrolled: 1-line block ×3, first 2 shown]
	v_add_f32_e32 v88, v92, v177
	v_fma_f32 v40, -0.5, v88, v40
	v_mov_b32_e32 v93, v40
	v_fmac_f32_e32 v93, 0xbf737871, v71
	v_fmac_f32_e32 v40, 0x3f737871, v71
	;; [unrolled: 1-line block ×4, first 2 shown]
	v_add_f32_e32 v67, v41, v187
	v_sub_f32_e32 v88, v94, v92
	v_sub_f32_e32 v90, v98, v177
	v_add_f32_e32 v67, v67, v97
	v_add_f32_e32 v88, v88, v90
	v_add_f32_e32 v67, v67, v176
	v_fmac_f32_e32 v93, 0x3e9e377a, v88
	v_fmac_f32_e32 v40, 0x3e9e377a, v88
	v_add_f32_e32 v88, v67, v180
	v_add_f32_e32 v67, v97, v176
	v_fma_f32 v90, -0.5, v67, v41
	v_sub_f32_e32 v67, v92, v177
	v_mov_b32_e32 v92, v90
	v_mul_f32_e32 v188, v95, v29
	v_fmac_f32_e32 v92, 0xbf737871, v67
	v_sub_f32_e32 v71, v94, v98
	v_sub_f32_e32 v94, v187, v97
	;; [unrolled: 1-line block ×3, first 2 shown]
	v_fmac_f32_e32 v90, 0x3f737871, v67
	v_fmac_f32_e32 v92, 0xbf167918, v71
	v_add_f32_e32 v94, v94, v95
	v_fmac_f32_e32 v90, 0x3f167918, v71
	v_fmac_f32_e32 v92, 0x3e9e377a, v94
	;; [unrolled: 1-line block ×3, first 2 shown]
	v_add_f32_e32 v94, v187, v180
	v_fma_f32 v41, -0.5, v94, v41
	v_mov_b32_e32 v94, v41
	v_fmac_f32_e32 v94, 0x3f737871, v71
	v_fmac_f32_e32 v41, 0xbf737871, v71
	;; [unrolled: 1-line block ×4, first 2 shown]
	v_add_f32_e32 v67, v42, v181
	v_fmac_f32_e32 v188, v96, v28
	v_sub_f32_e32 v95, v97, v187
	v_sub_f32_e32 v96, v176, v180
	v_add_f32_e32 v67, v67, v189
	v_mul_f32_e32 v178, v178, v25
	v_add_f32_e32 v95, v95, v96
	v_add_f32_e32 v67, v67, v191
	v_fmac_f32_e32 v178, v179, v24
	v_mul_f32_e32 v179, v182, v27
	v_fmac_f32_e32 v94, 0x3e9e377a, v95
	v_fmac_f32_e32 v41, 0x3e9e377a, v95
	v_add_f32_e32 v95, v67, v100
	v_add_f32_e32 v67, v189, v191
	v_fmac_f32_e32 v179, v183, v26
	v_fma_f32 v97, -0.5, v67, v42
	v_sub_f32_e32 v67, v188, v179
	v_mov_b32_e32 v99, v97
	v_fmac_f32_e32 v99, 0x3f737871, v67
	v_sub_f32_e32 v71, v190, v178
	v_sub_f32_e32 v96, v181, v189
	;; [unrolled: 1-line block ×3, first 2 shown]
	v_fmac_f32_e32 v97, 0xbf737871, v67
	v_fmac_f32_e32 v99, 0x3f167918, v71
	v_add_f32_e32 v96, v96, v98
	v_fmac_f32_e32 v97, 0xbf167918, v71
	v_fmac_f32_e32 v99, 0x3e9e377a, v96
	;; [unrolled: 1-line block ×3, first 2 shown]
	v_add_f32_e32 v96, v181, v100
	v_fma_f32 v42, -0.5, v96, v42
	v_mov_b32_e32 v101, v42
	v_fmac_f32_e32 v101, 0xbf737871, v71
	v_fmac_f32_e32 v42, 0x3f737871, v71
	;; [unrolled: 1-line block ×4, first 2 shown]
	v_add_f32_e32 v67, v43, v188
	v_sub_f32_e32 v96, v189, v181
	v_sub_f32_e32 v98, v191, v100
	v_add_f32_e32 v67, v67, v190
	v_add_f32_e32 v96, v96, v98
	;; [unrolled: 1-line block ×3, first 2 shown]
	v_fmac_f32_e32 v101, 0x3e9e377a, v96
	v_fmac_f32_e32 v42, 0x3e9e377a, v96
	v_add_f32_e32 v96, v67, v179
	v_add_f32_e32 v67, v190, v178
	v_fma_f32 v98, -0.5, v67, v43
	v_sub_f32_e32 v67, v181, v100
	v_mov_b32_e32 v100, v98
	v_fmac_f32_e32 v100, 0xbf737871, v67
	v_sub_f32_e32 v71, v189, v191
	v_sub_f32_e32 v102, v188, v190
	;; [unrolled: 1-line block ×3, first 2 shown]
	v_fmac_f32_e32 v98, 0x3f737871, v67
	v_fmac_f32_e32 v100, 0xbf167918, v71
	v_add_f32_e32 v102, v102, v103
	v_fmac_f32_e32 v98, 0x3f167918, v71
	v_fmac_f32_e32 v100, 0x3e9e377a, v102
	;; [unrolled: 1-line block ×3, first 2 shown]
	v_add_f32_e32 v102, v188, v179
	v_fmac_f32_e32 v43, -0.5, v102
	v_mov_b32_e32 v102, v43
	ds_write2_b64 v168, v[50:51], v[59:60] offset1:5
	ds_write2_b64 v168, v[55:56], v[63:64] offset0:10 offset1:15
	ds_write2_b64 v168, v[57:58], v[65:66] offset0:20 offset1:25
	;; [unrolled: 1-line block ×9, first 2 shown]
	v_and_b32_e32 v32, 0xff, v47
	v_fmac_f32_e32 v102, 0x3f737871, v71
	v_sub_f32_e32 v103, v190, v188
	v_sub_f32_e32 v165, v178, v179
	v_fmac_f32_e32 v43, 0xbf737871, v71
	v_lshl_add_u32 v176, v32, 3, v44
	v_and_b32_e32 v32, 0xff, v49
	v_fmac_f32_e32 v102, 0xbf167918, v67
	v_add_f32_e32 v103, v103, v165
	v_fmac_f32_e32 v43, 0x3f167918, v67
	v_lshl_add_u32 v177, v32, 3, v44
	v_fmac_f32_e32 v102, 0x3e9e377a, v103
	v_fmac_f32_e32 v43, 0x3e9e377a, v103
	ds_write2_b64 v176, v[87:88], v[91:92] offset0:100 offset1:110
	ds_write2_b64 v176, v[93:94], v[40:41] offset0:120 offset1:130
	ds_write_b64 v176, v[89:90] offset:1120
	ds_write2_b64 v177, v[95:96], v[99:100] offset0:100 offset1:110
	ds_write2_b64 v177, v[101:102], v[42:43] offset0:120 offset1:130
	ds_write_b64 v177, v[97:98] offset:1120
	s_waitcnt lgkmcnt(0)
	; wave barrier
	s_waitcnt lgkmcnt(0)
	global_load_dwordx4 v[32:35], v68, s[10:11] offset:320
	v_lshlrev_b32_e32 v36, 4, v45
	global_load_dwordx4 v[36:39], v36, s[10:11] offset:320
	v_lshlrev_b32_e32 v40, 4, v46
	global_load_dwordx4 v[40:43], v40, s[10:11] offset:320
	v_add_u32_e32 v44, 0xf0, v68
	global_load_dwordx4 v[44:47], v44, s[10:11] offset:320
	v_add_u32_e32 v56, 0x1e0, v68
	global_load_dwordx4 v[48:51], v48, s[10:11] offset:320
	v_add_u32_e32 v60, 0x230, v68
	global_load_dwordx4 v[52:55], v52, s[10:11] offset:320
	v_lshlrev_b32_e32 v64, 4, v170
	global_load_dwordx4 v[56:59], v56, s[10:11] offset:320
	s_nop 0
	global_load_dwordx4 v[60:63], v60, s[10:11] offset:320
	ds_read2_b64 v[73:76], v168 offset1:5
	ds_read2_b64 v[77:80], v168 offset0:50 offset1:55
	global_load_dwordx4 v[64:67], v64, s[10:11] offset:320
	v_add_u32_e32 v68, 0x2d0, v68
	ds_read2_b64 v[81:84], v168 offset0:100 offset1:105
	ds_read2_b64 v[85:88], v168 offset0:10 offset1:15
	;; [unrolled: 1-line block ×6, first 2 shown]
	global_load_dwordx4 v[68:71], v68, s[10:11] offset:320
	ds_read2_b64 v[182:185], v168 offset0:120 offset1:125
	ds_read2_b64 v[186:189], v168 offset0:30 offset1:35
	;; [unrolled: 1-line block ×7, first 2 shown]
	s_waitcnt vmcnt(9) lgkmcnt(13)
	v_mul_f32_e32 v101, v78, v33
	v_fma_f32 v101, v77, v32, -v101
	v_mul_f32_e32 v102, v77, v33
	s_waitcnt lgkmcnt(12)
	v_mul_f32_e32 v77, v82, v35
	v_fma_f32 v103, v81, v34, -v77
	s_waitcnt vmcnt(8)
	v_mul_f32_e32 v77, v80, v37
	v_fma_f32 v165, v79, v36, -v77
	v_mul_f32_e32 v77, v84, v39
	v_fma_f32 v210, v83, v38, -v77
	s_waitcnt vmcnt(7) lgkmcnt(10)
	v_mul_f32_e32 v77, v90, v41
	v_fma_f32 v212, v89, v40, -v77
	s_waitcnt lgkmcnt(9)
	v_mul_f32_e32 v77, v94, v43
	v_fma_f32 v214, v93, v42, -v77
	s_waitcnt vmcnt(6)
	v_mul_f32_e32 v77, v92, v45
	v_fma_f32 v215, v91, v44, -v77
	v_mul_f32_e32 v77, v96, v47
	v_fma_f32 v217, v95, v46, -v77
	s_waitcnt vmcnt(5) lgkmcnt(7)
	v_mul_f32_e32 v77, v179, v49
	v_fma_f32 v219, v178, v48, -v77
	v_mul_f32_e32 v178, v178, v49
	s_waitcnt lgkmcnt(6)
	v_mul_f32_e32 v77, v183, v51
	v_fmac_f32_e32 v178, v179, v48
	v_fma_f32 v179, v182, v50, -v77
	v_mul_f32_e32 v182, v182, v51
	s_waitcnt vmcnt(4)
	v_mul_f32_e32 v77, v181, v53
	v_fmac_f32_e32 v182, v183, v50
	v_fma_f32 v183, v180, v52, -v77
	v_mul_f32_e32 v220, v180, v53
	v_mul_f32_e32 v77, v185, v55
	v_fmac_f32_e32 v220, v181, v52
	v_fma_f32 v181, v184, v54, -v77
	v_mul_f32_e32 v184, v184, v55
	s_waitcnt vmcnt(3) lgkmcnt(4)
	v_mul_f32_e32 v77, v191, v57
	v_fmac_f32_e32 v184, v185, v54
	v_fma_f32 v221, v190, v56, -v77
	v_mul_f32_e32 v185, v190, v57
	s_waitcnt lgkmcnt(3)
	v_mul_f32_e32 v77, v195, v59
	v_fmac_f32_e32 v185, v191, v56
	v_fma_f32 v190, v194, v58, -v77
	v_mul_f32_e32 v191, v194, v59
	s_waitcnt vmcnt(2)
	v_mul_f32_e32 v77, v193, v61
	v_fmac_f32_e32 v191, v195, v58
	v_fma_f32 v194, v192, v60, -v77
	v_mul_f32_e32 v195, v192, v61
	v_mul_f32_e32 v77, v197, v63
	v_fmac_f32_e32 v195, v193, v60
	v_fma_f32 v193, v196, v62, -v77
	v_mul_f32_e32 v196, v196, v63
	s_waitcnt vmcnt(1) lgkmcnt(1)
	v_mul_f32_e32 v77, v203, v65
	v_fmac_f32_e32 v196, v197, v62
	v_fma_f32 v222, v202, v64, -v77
	v_mul_f32_e32 v197, v202, v65
	s_waitcnt lgkmcnt(0)
	v_mul_f32_e32 v77, v207, v67
	v_fmac_f32_e32 v197, v203, v64
	v_fma_f32 v202, v206, v66, -v77
	v_mul_f32_e32 v203, v206, v67
	s_waitcnt vmcnt(0)
	v_mul_f32_e32 v77, v205, v69
	v_fmac_f32_e32 v102, v78, v32
	v_mul_f32_e32 v81, v81, v35
	v_fmac_f32_e32 v203, v207, v66
	v_fma_f32 v206, v204, v68, -v77
	v_mul_f32_e32 v207, v204, v69
	v_mul_f32_e32 v77, v209, v71
	v_add_f32_e32 v78, v101, v103
	v_fmac_f32_e32 v81, v82, v34
	v_mul_f32_e32 v166, v79, v37
	v_fmac_f32_e32 v207, v205, v68
	v_fma_f32 v205, v208, v70, -v77
	v_add_f32_e32 v77, v73, v101
	v_fma_f32 v73, -0.5, v78, v73
	v_fmac_f32_e32 v166, v80, v36
	v_sub_f32_e32 v78, v102, v81
	v_mov_b32_e32 v79, v73
	v_add_f32_e32 v80, v102, v81
	v_fmac_f32_e32 v79, 0x3f5db3d7, v78
	v_fmac_f32_e32 v73, 0xbf5db3d7, v78
	v_add_f32_e32 v78, v74, v102
	v_fma_f32 v74, -0.5, v80, v74
	v_mul_f32_e32 v211, v83, v39
	v_add_f32_e32 v78, v78, v81
	v_sub_f32_e32 v81, v101, v103
	v_mov_b32_e32 v80, v74
	v_add_f32_e32 v82, v165, v210
	v_fmac_f32_e32 v211, v84, v38
	v_fmac_f32_e32 v80, 0xbf5db3d7, v81
	v_fmac_f32_e32 v74, 0x3f5db3d7, v81
	v_add_f32_e32 v81, v75, v165
	v_fma_f32 v75, -0.5, v82, v75
	v_sub_f32_e32 v82, v166, v211
	v_mov_b32_e32 v83, v75
	v_add_f32_e32 v84, v166, v211
	v_mul_f32_e32 v213, v89, v41
	v_fmac_f32_e32 v83, 0x3f5db3d7, v82
	v_fmac_f32_e32 v75, 0xbf5db3d7, v82
	v_add_f32_e32 v82, v76, v166
	v_fmac_f32_e32 v76, -0.5, v84
	v_fmac_f32_e32 v213, v90, v40
	v_mul_f32_e32 v93, v93, v43
	v_sub_f32_e32 v89, v165, v210
	v_mov_b32_e32 v84, v76
	v_add_f32_e32 v90, v212, v214
	v_fmac_f32_e32 v93, v94, v42
	v_mul_f32_e32 v216, v91, v45
	v_fmac_f32_e32 v84, 0xbf5db3d7, v89
	v_fmac_f32_e32 v76, 0x3f5db3d7, v89
	v_add_f32_e32 v89, v85, v212
	v_fma_f32 v85, -0.5, v90, v85
	v_fmac_f32_e32 v216, v92, v44
	v_sub_f32_e32 v90, v213, v93
	v_mov_b32_e32 v91, v85
	v_add_f32_e32 v92, v213, v93
	v_fmac_f32_e32 v91, 0x3f5db3d7, v90
	v_fmac_f32_e32 v85, 0xbf5db3d7, v90
	v_add_f32_e32 v90, v86, v213
	v_fma_f32 v86, -0.5, v92, v86
	v_mul_f32_e32 v218, v95, v47
	v_add_f32_e32 v90, v90, v93
	v_sub_f32_e32 v93, v212, v214
	v_mov_b32_e32 v92, v86
	v_add_f32_e32 v94, v215, v217
	v_fmac_f32_e32 v218, v96, v46
	v_fmac_f32_e32 v92, 0xbf5db3d7, v93
	;; [unrolled: 1-line block ×3, first 2 shown]
	v_add_f32_e32 v93, v87, v215
	v_fma_f32 v87, -0.5, v94, v87
	v_sub_f32_e32 v94, v216, v218
	v_mov_b32_e32 v95, v87
	v_add_f32_e32 v96, v216, v218
	v_fmac_f32_e32 v95, 0x3f5db3d7, v94
	v_fmac_f32_e32 v87, 0xbf5db3d7, v94
	v_add_f32_e32 v94, v88, v216
	v_fmac_f32_e32 v88, -0.5, v96
	v_sub_f32_e32 v101, v215, v217
	v_mov_b32_e32 v96, v88
	v_add_f32_e32 v102, v219, v179
	v_fmac_f32_e32 v96, 0xbf5db3d7, v101
	v_fmac_f32_e32 v88, 0x3f5db3d7, v101
	v_add_f32_e32 v101, v97, v219
	v_fma_f32 v97, -0.5, v102, v97
	v_add_f32_e32 v77, v77, v103
	v_sub_f32_e32 v102, v178, v182
	v_mov_b32_e32 v165, v97
	v_add_f32_e32 v103, v178, v182
	v_fmac_f32_e32 v165, 0x3f5db3d7, v102
	v_fmac_f32_e32 v97, 0xbf5db3d7, v102
	v_add_f32_e32 v102, v98, v178
	v_fma_f32 v98, -0.5, v103, v98
	v_sub_f32_e32 v103, v219, v179
	v_mov_b32_e32 v166, v98
	v_fmac_f32_e32 v166, 0xbf5db3d7, v103
	v_fmac_f32_e32 v98, 0x3f5db3d7, v103
	v_add_f32_e32 v103, v99, v183
	v_add_f32_e32 v178, v103, v181
	v_add_f32_e32 v103, v183, v181
	v_fma_f32 v99, -0.5, v103, v99
	v_sub_f32_e32 v103, v220, v184
	v_mov_b32_e32 v180, v99
	v_fmac_f32_e32 v180, 0x3f5db3d7, v103
	v_fmac_f32_e32 v99, 0xbf5db3d7, v103
	v_add_f32_e32 v103, v100, v220
	v_add_f32_e32 v101, v101, v179
	;; [unrolled: 1-line block ×4, first 2 shown]
	v_fmac_f32_e32 v100, -0.5, v103
	v_sub_f32_e32 v103, v183, v181
	v_mov_b32_e32 v181, v100
	v_fmac_f32_e32 v181, 0xbf5db3d7, v103
	v_fmac_f32_e32 v100, 0x3f5db3d7, v103
	v_add_f32_e32 v103, v186, v221
	v_add_f32_e32 v102, v102, v182
	;; [unrolled: 1-line block ×4, first 2 shown]
	v_fma_f32 v184, -0.5, v103, v186
	v_sub_f32_e32 v103, v185, v191
	v_mov_b32_e32 v186, v184
	v_fmac_f32_e32 v186, 0x3f5db3d7, v103
	v_fmac_f32_e32 v184, 0xbf5db3d7, v103
	v_add_f32_e32 v103, v187, v185
	v_add_f32_e32 v183, v103, v191
	v_add_f32_e32 v103, v185, v191
	v_fma_f32 v185, -0.5, v103, v187
	v_sub_f32_e32 v103, v221, v190
	v_mov_b32_e32 v187, v185
	v_fmac_f32_e32 v187, 0xbf5db3d7, v103
	v_fmac_f32_e32 v185, 0x3f5db3d7, v103
	v_add_f32_e32 v103, v188, v194
	v_add_f32_e32 v190, v103, v193
	v_add_f32_e32 v103, v194, v193
	;; [unrolled: 8-line block ×3, first 2 shown]
	v_fmac_f32_e32 v189, -0.5, v103
	v_sub_f32_e32 v103, v194, v193
	v_mov_b32_e32 v193, v189
	v_fmac_f32_e32 v193, 0xbf5db3d7, v103
	v_fmac_f32_e32 v189, 0x3f5db3d7, v103
	v_add_f32_e32 v103, v198, v222
	v_add_f32_e32 v194, v103, v202
	;; [unrolled: 1-line block ×3, first 2 shown]
	v_fma_f32 v196, -0.5, v103, v198
	v_sub_f32_e32 v103, v197, v203
	v_mov_b32_e32 v198, v196
	v_fmac_f32_e32 v198, 0x3f5db3d7, v103
	v_fmac_f32_e32 v196, 0xbf5db3d7, v103
	v_add_f32_e32 v103, v199, v197
	v_add_f32_e32 v195, v103, v203
	;; [unrolled: 1-line block ×3, first 2 shown]
	v_fma_f32 v197, -0.5, v103, v199
	v_sub_f32_e32 v103, v222, v202
	v_mov_b32_e32 v199, v197
	v_fmac_f32_e32 v199, 0xbf5db3d7, v103
	v_fmac_f32_e32 v197, 0x3f5db3d7, v103
	v_add_f32_e32 v103, v200, v206
	v_mul_f32_e32 v208, v208, v71
	v_add_f32_e32 v202, v103, v205
	v_add_f32_e32 v103, v206, v205
	v_fmac_f32_e32 v208, v209, v70
	v_fma_f32 v200, -0.5, v103, v200
	v_sub_f32_e32 v103, v207, v208
	v_mov_b32_e32 v204, v200
	v_fmac_f32_e32 v204, 0x3f5db3d7, v103
	v_fmac_f32_e32 v200, 0xbf5db3d7, v103
	v_add_f32_e32 v103, v201, v207
	v_add_f32_e32 v203, v103, v208
	;; [unrolled: 1-line block ×3, first 2 shown]
	v_fmac_f32_e32 v201, -0.5, v103
	v_add_f32_e32 v81, v81, v210
	v_add_f32_e32 v82, v82, v211
	;; [unrolled: 1-line block ×5, first 2 shown]
	v_sub_f32_e32 v103, v206, v205
	v_mov_b32_e32 v205, v201
	v_fmac_f32_e32 v205, 0xbf5db3d7, v103
	v_fmac_f32_e32 v201, 0x3f5db3d7, v103
	ds_write_b64 v168, v[79:80] offset:400
	ds_write_b64 v168, v[73:74] offset:800
	ds_write2_b64 v168, v[77:78], v[81:82] offset1:5
	ds_write2_b64 v168, v[83:84], v[91:92] offset0:55 offset1:60
	ds_write2_b64 v168, v[75:76], v[85:86] offset0:105 offset1:110
	;; [unrolled: 1-line block ×12, first 2 shown]
	ds_write_b64 v168, v[204:205] offset:760
	ds_write_b64 v168, v[200:201] offset:1160
	s_waitcnt lgkmcnt(0)
	; wave barrier
	s_waitcnt lgkmcnt(0)
	global_load_dwordx2 v[81:82], v72, s[8:9] offset:1200
	global_load_dwordx2 v[85:86], v72, s[6:7] offset:120
	;; [unrolled: 1-line block ×13, first 2 shown]
	ds_read2_b64 v[73:76], v168 offset1:5
	global_load_dwordx2 v[188:189], v72, s[6:7] offset:400
	global_load_dwordx2 v[194:195], v72, s[6:7] offset:520
	;; [unrolled: 1-line block ×5, first 2 shown]
	v_mad_u64_u32 v[165:166], s[8:9], s2, v144, 0
	s_waitcnt vmcnt(17) lgkmcnt(0)
	v_mul_f32_e32 v77, v74, v82
	v_fma_f32 v192, v73, v81, -v77
	ds_read2_b64 v[77:80], v168 offset0:10 offset1:15
	v_mul_f32_e32 v193, v73, v82
	v_fmac_f32_e32 v193, v74, v81
	ds_read2_b64 v[81:84], v168 offset0:30 offset1:35
	global_load_dwordx2 v[202:203], v72, s[6:7] offset:760
	global_load_dwordx2 v[204:205], v72, s[6:7] offset:320
	;; [unrolled: 1-line block ×3, first 2 shown]
	s_waitcnt vmcnt(19) lgkmcnt(1)
	v_mul_f32_e32 v73, v80, v86
	v_mul_f32_e32 v199, v79, v86
	v_fma_f32 v198, v79, v85, -v73
	v_fmac_f32_e32 v199, v80, v85
	s_waitcnt vmcnt(18) lgkmcnt(0)
	v_mul_f32_e32 v73, v82, v90
	v_mul_f32_e32 v209, v81, v90
	ds_read2_b64 v[85:88], v168 offset0:40 offset1:45
	v_fma_f32 v208, v81, v89, -v73
	v_fmac_f32_e32 v209, v82, v89
	ds_read2_b64 v[79:82], v168 offset0:60 offset1:65
	global_load_dwordx2 v[210:211], v72, s[6:7] offset:880
	global_load_dwordx2 v[212:213], v72, s[6:7] offset:1000
	;; [unrolled: 1-line block ×3, first 2 shown]
	s_waitcnt vmcnt(20) lgkmcnt(1)
	v_mul_f32_e32 v73, v88, v92
	v_mul_f32_e32 v217, v87, v92
	global_load_dwordx2 v[218:219], v72, s[6:7] offset:1120
	global_load_dwordx2 v[222:223], v72, s[6:7] offset:560
	v_fma_f32 v216, v87, v91, -v73
	v_fmac_f32_e32 v217, v88, v91
	s_waitcnt vmcnt(21) lgkmcnt(0)
	v_mul_f32_e32 v73, v80, v94
	ds_read2_b64 v[87:90], v168 offset0:70 offset1:75
	v_mul_f32_e32 v221, v79, v94
	v_fma_f32 v220, v79, v93, -v73
	v_fmac_f32_e32 v221, v80, v93
	ds_read2_b64 v[91:94], v168 offset0:90 offset1:95
	s_waitcnt vmcnt(20) lgkmcnt(1)
	v_mul_f32_e32 v73, v90, v96
	v_mul_f32_e32 v225, v89, v96
	v_fma_f32 v224, v89, v95, -v73
	v_fmac_f32_e32 v225, v90, v95
	global_load_dwordx2 v[226:227], v72, s[6:7] offset:800
	global_load_dwordx2 v[228:229], v72, s[6:7] offset:680
	s_waitcnt vmcnt(21) lgkmcnt(0)
	v_mul_f32_e32 v73, v92, v100
	ds_read2_b64 v[95:98], v168 offset0:100 offset1:105
	v_mul_f32_e32 v231, v91, v100
	v_fma_f32 v230, v91, v99, -v73
	v_fmac_f32_e32 v231, v92, v99
	ds_read2_b64 v[89:92], v168 offset0:120 offset1:125
	s_waitcnt vmcnt(20) lgkmcnt(1)
	v_mul_f32_e32 v73, v98, v102
	global_load_dwordx2 v[232:233], v72, s[6:7] offset:920
	v_fma_f32 v234, v97, v101, -v73
	v_mul_f32_e32 v235, v97, v102
	s_waitcnt vmcnt(20) lgkmcnt(0)
	v_mul_f32_e32 v97, v90, v179
	v_mul_f32_e32 v102, v89, v179
	v_fmac_f32_e32 v235, v98, v101
	v_fma_f32 v101, v89, v178, -v97
	v_fmac_f32_e32 v102, v90, v178
	global_load_dwordx2 v[89:90], v72, s[6:7] offset:1040
	s_waitcnt vmcnt(20)
	v_mul_f32_e32 v73, v76, v181
	v_mul_f32_e32 v80, v75, v181
	v_fma_f32 v79, v75, v180, -v73
	v_fmac_f32_e32 v80, v76, v180
	ds_read2_b64 v[73:76], v168 offset0:130 offset1:135
	ds_read2_b64 v[97:100], v168 offset0:20 offset1:25
	;; [unrolled: 1-line block ×3, first 2 shown]
	ds_write2_b64 v168, v[192:193], v[79:80] offset1:5
	s_waitcnt vmcnt(15)
	v_mul_f32_e32 v80, v81, v195
	s_waitcnt lgkmcnt(3)
	v_mul_f32_e32 v72, v76, v183
	v_fma_f32 v192, v75, v182, -v72
	v_mul_f32_e32 v193, v75, v183
	v_mul_f32_e32 v72, v84, v185
	v_fmac_f32_e32 v193, v76, v182
	v_fma_f32 v75, v83, v184, -v72
	v_mul_f32_e32 v76, v83, v185
	s_waitcnt lgkmcnt(2)
	v_mul_f32_e32 v72, v98, v187
	v_fmac_f32_e32 v76, v84, v184
	v_fma_f32 v83, v97, v186, -v72
	s_waitcnt lgkmcnt(1)
	v_mul_f32_e32 v72, v179, v189
	ds_write2_b64 v168, v[208:209], v[75:76] offset0:30 offset1:35
	v_fma_f32 v75, v178, v188, -v72
	v_mul_f32_e32 v72, v82, v195
	ds_read2_b64 v[182:185], v168 offset0:80 offset1:85
	v_fma_f32 v79, v81, v194, -v72
	v_fmac_f32_e32 v80, v82, v194
	ds_write2_b64 v168, v[220:221], v[79:80] offset0:60 offset1:65
	ds_read2_b64 v[79:82], v168 offset0:110 offset1:115
	v_mul_f32_e32 v84, v97, v187
	v_mul_f32_e32 v76, v178, v189
	v_fmac_f32_e32 v84, v98, v186
	v_fmac_f32_e32 v76, v179, v188
	ds_read2_b64 v[186:189], v168 offset0:140 offset1:145
	s_waitcnt vmcnt(14) lgkmcnt(3)
	v_mul_f32_e32 v72, v183, v201
	v_fma_f32 v97, v182, v200, -v72
	s_waitcnt vmcnt(11)
	v_mul_f32_e32 v72, v94, v203
	v_mul_f32_e32 v179, v93, v203
	v_fma_f32 v178, v93, v202, -v72
	v_fmac_f32_e32 v179, v94, v202
	v_mul_f32_e32 v98, v182, v201
	v_fmac_f32_e32 v98, v183, v200
	ds_write2_b64 v168, v[230:231], v[178:179] offset0:90 offset1:95
	s_waitcnt vmcnt(8) lgkmcnt(2)
	v_mul_f32_e32 v72, v80, v211
	v_mul_f32_e32 v94, v79, v211
	v_fma_f32 v93, v79, v210, -v72
	v_fmac_f32_e32 v94, v80, v210
	s_waitcnt vmcnt(7)
	v_mul_f32_e32 v72, v92, v213
	v_mul_f32_e32 v80, v91, v213
	v_fma_f32 v79, v91, v212, -v72
	v_fmac_f32_e32 v80, v92, v212
	s_waitcnt vmcnt(5) lgkmcnt(1)
	v_mul_f32_e32 v72, v187, v219
	ds_write2_b64 v168, v[101:102], v[79:80] offset0:120 offset1:125
	v_fma_f32 v79, v186, v218, -v72
	v_mul_f32_e32 v72, v78, v197
	v_mul_f32_e32 v92, v77, v197
	v_fma_f32 v91, v77, v196, -v72
	v_fmac_f32_e32 v92, v78, v196
	v_mul_f32_e32 v72, v100, v207
	v_mul_f32_e32 v78, v99, v207
	v_fma_f32 v77, v99, v206, -v72
	v_fmac_f32_e32 v78, v100, v206
	ds_write2_b64 v168, v[83:84], v[77:78] offset0:20 offset1:25
	v_mul_f32_e32 v72, v86, v205
	v_mul_f32_e32 v78, v85, v205
	v_fma_f32 v77, v85, v204, -v72
	v_fmac_f32_e32 v78, v86, v204
	ds_write2_b64 v168, v[77:78], v[216:217] offset0:40 offset1:45
	;; [unrolled: 5-line block ×3, first 2 shown]
	s_waitcnt vmcnt(4)
	v_mul_f32_e32 v72, v88, v223
	v_mul_f32_e32 v76, v87, v223
	v_fma_f32 v75, v87, v222, -v72
	v_fmac_f32_e32 v76, v88, v222
	ds_write2_b64 v168, v[75:76], v[224:225] offset0:70 offset1:75
	s_waitcnt vmcnt(2)
	v_mul_f32_e32 v72, v185, v229
	v_mul_f32_e32 v76, v184, v229
	v_fma_f32 v75, v184, v228, -v72
	v_fmac_f32_e32 v76, v185, v228
	ds_write2_b64 v168, v[97:98], v[75:76] offset0:80 offset1:85
	v_mul_f32_e32 v72, v96, v227
	v_mul_f32_e32 v76, v95, v227
	v_fma_f32 v75, v95, v226, -v72
	v_fmac_f32_e32 v76, v96, v226
	s_waitcnt vmcnt(1)
	v_mul_f32_e32 v72, v82, v233
	ds_write2_b64 v168, v[75:76], v[234:235] offset0:100 offset1:105
	v_fma_f32 v75, v81, v232, -v72
	s_waitcnt vmcnt(0)
	v_mul_f32_e32 v72, v74, v90
	v_fma_f32 v72, v73, v89, -v72
	v_mul_f32_e32 v73, v73, v90
	v_fmac_f32_e32 v73, v74, v89
	v_mul_f32_e32 v80, v186, v219
	v_mul_f32_e32 v76, v81, v233
	ds_write2_b64 v168, v[72:73], v[192:193] offset0:130 offset1:135
	v_mul_f32_e32 v72, v189, v191
	v_mul_f32_e32 v73, v188, v191
	v_fmac_f32_e32 v80, v187, v218
	v_fmac_f32_e32 v76, v82, v232
	v_fma_f32 v72, v188, v190, -v72
	v_fmac_f32_e32 v73, v189, v190
	ds_write2_b64 v168, v[91:92], v[198:199] offset0:10 offset1:15
	ds_write2_b64 v168, v[93:94], v[75:76] offset0:110 offset1:115
	ds_write2_b64 v168, v[79:80], v[72:73] offset0:140 offset1:145
	s_waitcnt lgkmcnt(0)
	; wave barrier
	s_waitcnt lgkmcnt(0)
	ds_read2_b64 v[178:181], v168 offset1:5
	ds_read2_b64 v[72:75], v168 offset0:10 offset1:15
	ds_read2_b64 v[182:185], v168 offset0:30 offset1:35
	;; [unrolled: 1-line block ×14, first 2 shown]
	s_waitcnt lgkmcnt(12)
	v_add_f32_e32 v206, v178, v182
	s_waitcnt lgkmcnt(10)
	v_add_f32_e32 v206, v206, v186
	;; [unrolled: 2-line block ×4, first 2 shown]
	v_add_f32_e32 v206, v186, v190
	v_fma_f32 v211, -0.5, v206, v178
	v_sub_f32_e32 v206, v183, v199
	v_mov_b32_e32 v212, v211
	v_fmac_f32_e32 v212, 0xbf737871, v206
	v_sub_f32_e32 v207, v187, v191
	v_sub_f32_e32 v208, v182, v186
	;; [unrolled: 1-line block ×3, first 2 shown]
	v_fmac_f32_e32 v211, 0x3f737871, v206
	v_fmac_f32_e32 v212, 0xbf167918, v207
	v_add_f32_e32 v208, v208, v209
	v_fmac_f32_e32 v211, 0x3f167918, v207
	v_fmac_f32_e32 v212, 0x3e9e377a, v208
	;; [unrolled: 1-line block ×3, first 2 shown]
	v_add_f32_e32 v208, v182, v198
	v_fma_f32 v178, -0.5, v208, v178
	v_mov_b32_e32 v213, v178
	v_fmac_f32_e32 v213, 0x3f737871, v207
	v_fmac_f32_e32 v178, 0xbf737871, v207
	;; [unrolled: 1-line block ×4, first 2 shown]
	v_add_f32_e32 v206, v179, v183
	v_add_f32_e32 v206, v206, v187
	v_add_f32_e32 v206, v206, v191
	v_add_f32_e32 v215, v206, v199
	v_add_f32_e32 v206, v187, v191
	v_fma_f32 v219, -0.5, v206, v179
	v_sub_f32_e32 v208, v186, v182
	v_sub_f32_e32 v182, v182, v198
	v_mov_b32_e32 v217, v219
	v_sub_f32_e32 v209, v190, v198
	v_fmac_f32_e32 v217, 0x3f737871, v182
	v_sub_f32_e32 v186, v186, v190
	v_sub_f32_e32 v190, v183, v187
	;; [unrolled: 1-line block ×3, first 2 shown]
	v_fmac_f32_e32 v219, 0xbf737871, v182
	v_fmac_f32_e32 v217, 0x3f167918, v186
	v_add_f32_e32 v190, v190, v198
	v_fmac_f32_e32 v219, 0xbf167918, v186
	v_fmac_f32_e32 v217, 0x3e9e377a, v190
	;; [unrolled: 1-line block ×3, first 2 shown]
	v_add_f32_e32 v190, v183, v199
	v_fma_f32 v179, -0.5, v190, v179
	v_mov_b32_e32 v190, v179
	v_fmac_f32_e32 v190, 0xbf737871, v186
	v_sub_f32_e32 v183, v187, v183
	v_sub_f32_e32 v187, v191, v199
	v_fmac_f32_e32 v179, 0x3f737871, v186
	v_fmac_f32_e32 v190, 0x3f167918, v182
	v_add_f32_e32 v183, v183, v187
	v_fmac_f32_e32 v179, 0xbf167918, v182
	v_fmac_f32_e32 v190, 0x3e9e377a, v183
	;; [unrolled: 1-line block ×3, first 2 shown]
	v_add_f32_e32 v183, v102, v196
	v_fma_f32 v183, -0.5, v183, v74
	s_waitcnt lgkmcnt(5)
	v_sub_f32_e32 v186, v99, v205
	v_mov_b32_e32 v187, v183
	v_fmac_f32_e32 v187, 0xbf737871, v186
	v_sub_f32_e32 v191, v103, v197
	v_sub_f32_e32 v198, v98, v102
	;; [unrolled: 1-line block ×3, first 2 shown]
	v_fmac_f32_e32 v183, 0x3f737871, v186
	v_fmac_f32_e32 v187, 0xbf167918, v191
	v_add_f32_e32 v198, v198, v199
	v_fmac_f32_e32 v183, 0x3f167918, v191
	v_fmac_f32_e32 v187, 0x3e9e377a, v198
	;; [unrolled: 1-line block ×3, first 2 shown]
	v_add_f32_e32 v198, v98, v204
	v_add_f32_e32 v182, v74, v98
	v_fma_f32 v74, -0.5, v198, v74
	v_mov_b32_e32 v207, v74
	v_fmac_f32_e32 v207, 0x3f737871, v191
	v_fmac_f32_e32 v74, 0xbf737871, v191
	v_add_f32_e32 v191, v103, v197
	v_sub_f32_e32 v198, v102, v98
	v_sub_f32_e32 v199, v196, v204
	v_fma_f32 v191, -0.5, v191, v75
	v_add_f32_e32 v182, v182, v102
	v_fmac_f32_e32 v207, 0xbf167918, v186
	v_add_f32_e32 v198, v198, v199
	v_fmac_f32_e32 v74, 0x3f167918, v186
	v_sub_f32_e32 v98, v98, v204
	v_mov_b32_e32 v199, v191
	v_add_f32_e32 v182, v182, v196
	v_fmac_f32_e32 v207, 0x3e9e377a, v198
	v_fmac_f32_e32 v74, 0x3e9e377a, v198
	;; [unrolled: 1-line block ×3, first 2 shown]
	v_sub_f32_e32 v102, v102, v196
	v_sub_f32_e32 v196, v99, v103
	;; [unrolled: 1-line block ×3, first 2 shown]
	v_fmac_f32_e32 v191, 0xbf737871, v98
	v_fmac_f32_e32 v199, 0x3f167918, v102
	v_add_f32_e32 v196, v196, v198
	v_fmac_f32_e32 v191, 0xbf167918, v102
	v_fmac_f32_e32 v199, 0x3e9e377a, v196
	;; [unrolled: 1-line block ×3, first 2 shown]
	v_add_f32_e32 v196, v99, v205
	v_add_f32_e32 v186, v75, v99
	v_fma_f32 v75, -0.5, v196, v75
	v_add_f32_e32 v208, v208, v209
	v_add_f32_e32 v186, v186, v103
	v_mov_b32_e32 v209, v75
	v_sub_f32_e32 v99, v103, v99
	v_sub_f32_e32 v103, v197, v205
	v_fmac_f32_e32 v75, 0x3f737871, v102
	v_add_f32_e32 v99, v99, v103
	v_fmac_f32_e32 v75, 0xbf167918, v98
	v_fmac_f32_e32 v75, 0x3e9e377a, v99
	;; [unrolled: 1-line block ×3, first 2 shown]
	v_mul_f32_e32 v102, 0xbf737871, v75
	v_mul_f32_e32 v75, 0xbe9e377a, v75
	v_fmac_f32_e32 v209, 0x3f167918, v98
	v_fmac_f32_e32 v102, 0xbe9e377a, v74
	;; [unrolled: 1-line block ×3, first 2 shown]
	v_mul_f32_e32 v74, 0xbf4f1bbd, v191
	v_fmac_f32_e32 v209, 0x3e9e377a, v99
	v_fmac_f32_e32 v74, 0x3f167918, v183
	v_mul_f32_e32 v99, 0xbf737871, v209
	v_mul_f32_e32 v220, 0x3e9e377a, v209
	v_add_f32_e32 v209, v219, v74
	v_sub_f32_e32 v219, v219, v74
	v_add_f32_e32 v74, v180, v184
	v_mul_f32_e32 v98, 0xbf167918, v199
	v_add_f32_e32 v74, v74, v188
	v_fmac_f32_e32 v98, 0x3f4f1bbd, v187
	v_add_f32_e32 v74, v74, v192
	v_fmac_f32_e32 v213, 0x3e9e377a, v208
	v_add_f32_e32 v198, v212, v98
	v_fmac_f32_e32 v99, 0x3e9e377a, v207
	v_sub_f32_e32 v212, v212, v98
	v_add_f32_e32 v98, v74, v200
	v_add_f32_e32 v74, v188, v192
	v_fmac_f32_e32 v178, 0x3e9e377a, v208
	v_add_f32_e32 v182, v182, v204
	v_add_f32_e32 v204, v213, v99
	v_mul_f32_e32 v103, 0xbf167918, v191
	v_mul_f32_e32 v187, 0x3f167918, v187
	v_sub_f32_e32 v214, v213, v99
	v_fma_f32 v99, -0.5, v74, v180
	v_add_f32_e32 v206, v178, v102
	v_fmac_f32_e32 v103, 0xbf4f1bbd, v183
	v_fmac_f32_e32 v187, 0x3f4f1bbd, v199
	v_sub_f32_e32 v216, v178, v102
	v_sub_f32_e32 v74, v185, v201
	v_mov_b32_e32 v102, v99
	v_add_f32_e32 v208, v211, v103
	v_add_f32_e32 v199, v217, v187
	v_fmac_f32_e32 v220, 0x3f737871, v207
	v_add_f32_e32 v207, v179, v75
	v_sub_f32_e32 v218, v211, v103
	v_sub_f32_e32 v213, v217, v187
	;; [unrolled: 1-line block ×3, first 2 shown]
	v_fmac_f32_e32 v102, 0xbf737871, v74
	v_sub_f32_e32 v75, v189, v193
	v_sub_f32_e32 v103, v184, v188
	;; [unrolled: 1-line block ×3, first 2 shown]
	v_fmac_f32_e32 v99, 0x3f737871, v74
	v_fmac_f32_e32 v102, 0xbf167918, v75
	v_add_f32_e32 v103, v103, v178
	v_fmac_f32_e32 v99, 0x3f167918, v75
	v_fmac_f32_e32 v102, 0x3e9e377a, v103
	v_fmac_f32_e32 v99, 0x3e9e377a, v103
	v_add_f32_e32 v103, v184, v200
	v_fma_f32 v103, -0.5, v103, v180
	v_mov_b32_e32 v178, v103
	v_fmac_f32_e32 v178, 0x3f737871, v75
	v_fmac_f32_e32 v103, 0xbf737871, v75
	;; [unrolled: 1-line block ×4, first 2 shown]
	v_add_f32_e32 v74, v181, v185
	v_sub_f32_e32 v179, v188, v184
	v_sub_f32_e32 v180, v192, v200
	v_add_f32_e32 v74, v74, v189
	v_add_f32_e32 v186, v186, v197
	;; [unrolled: 1-line block ×5, first 2 shown]
	v_fmac_f32_e32 v178, 0x3e9e377a, v179
	v_fmac_f32_e32 v103, 0x3e9e377a, v179
	v_add_f32_e32 v179, v74, v201
	v_add_f32_e32 v74, v189, v193
	;; [unrolled: 1-line block ×4, first 2 shown]
	v_sub_f32_e32 v211, v215, v186
	v_sub_f32_e32 v215, v190, v220
	v_fma_f32 v220, -0.5, v74, v181
	v_sub_f32_e32 v74, v184, v200
	v_mov_b32_e32 v191, v220
	v_add_f32_e32 v196, v210, v182
	v_sub_f32_e32 v210, v210, v182
	v_fmac_f32_e32 v191, 0x3f737871, v74
	v_sub_f32_e32 v75, v188, v192
	v_sub_f32_e32 v180, v185, v189
	;; [unrolled: 1-line block ×3, first 2 shown]
	v_fmac_f32_e32 v220, 0xbf737871, v74
	v_fmac_f32_e32 v191, 0x3f167918, v75
	v_add_f32_e32 v180, v180, v182
	v_fmac_f32_e32 v220, 0xbf167918, v75
	v_fmac_f32_e32 v191, 0x3e9e377a, v180
	;; [unrolled: 1-line block ×3, first 2 shown]
	v_add_f32_e32 v180, v185, v201
	v_fmac_f32_e32 v181, -0.5, v180
	v_mov_b32_e32 v200, v181
	v_fmac_f32_e32 v200, 0xbf737871, v75
	v_fmac_f32_e32 v181, 0x3f737871, v75
	;; [unrolled: 1-line block ×4, first 2 shown]
	s_waitcnt lgkmcnt(3)
	v_add_f32_e32 v74, v76, v80
	v_sub_f32_e32 v180, v189, v185
	v_sub_f32_e32 v182, v193, v201
	s_waitcnt lgkmcnt(2)
	v_add_f32_e32 v74, v74, v84
	v_add_f32_e32 v180, v180, v182
	s_waitcnt lgkmcnt(1)
	v_add_f32_e32 v74, v74, v88
	v_fmac_f32_e32 v200, 0x3e9e377a, v180
	v_fmac_f32_e32 v181, 0x3e9e377a, v180
	s_waitcnt lgkmcnt(0)
	v_add_f32_e32 v180, v74, v92
	v_add_f32_e32 v74, v84, v88
	v_fma_f32 v187, -0.5, v74, v76
	v_sub_f32_e32 v74, v81, v93
	v_mov_b32_e32 v75, v187
	v_fmac_f32_e32 v75, 0xbf737871, v74
	v_sub_f32_e32 v182, v85, v89
	v_sub_f32_e32 v183, v80, v84
	;; [unrolled: 1-line block ×3, first 2 shown]
	v_fmac_f32_e32 v187, 0x3f737871, v74
	v_fmac_f32_e32 v75, 0xbf167918, v182
	v_add_f32_e32 v183, v183, v184
	v_fmac_f32_e32 v187, 0x3f167918, v182
	v_fmac_f32_e32 v75, 0x3e9e377a, v183
	;; [unrolled: 1-line block ×3, first 2 shown]
	v_add_f32_e32 v183, v80, v92
	v_fma_f32 v185, -0.5, v183, v76
	v_mov_b32_e32 v183, v185
	v_fmac_f32_e32 v183, 0x3f737871, v182
	v_fmac_f32_e32 v185, 0xbf737871, v182
	;; [unrolled: 1-line block ×4, first 2 shown]
	v_add_f32_e32 v74, v77, v81
	v_add_f32_e32 v74, v74, v85
	;; [unrolled: 1-line block ×5, first 2 shown]
	v_sub_f32_e32 v76, v84, v80
	v_sub_f32_e32 v184, v88, v92
	v_fma_f32 v188, -0.5, v74, v77
	v_add_f32_e32 v76, v76, v184
	v_sub_f32_e32 v74, v80, v92
	v_mov_b32_e32 v80, v188
	v_fmac_f32_e32 v183, 0x3e9e377a, v76
	v_fmac_f32_e32 v185, 0x3e9e377a, v76
	v_fmac_f32_e32 v80, 0x3f737871, v74
	v_sub_f32_e32 v76, v84, v88
	v_sub_f32_e32 v84, v81, v85
	;; [unrolled: 1-line block ×3, first 2 shown]
	v_fmac_f32_e32 v188, 0xbf737871, v74
	v_fmac_f32_e32 v80, 0x3f167918, v76
	v_add_f32_e32 v84, v84, v88
	v_fmac_f32_e32 v188, 0xbf167918, v76
	v_fmac_f32_e32 v80, 0x3e9e377a, v84
	;; [unrolled: 1-line block ×3, first 2 shown]
	v_add_f32_e32 v84, v81, v93
	v_fma_f32 v84, -0.5, v84, v77
	v_mov_b32_e32 v88, v84
	v_fmac_f32_e32 v88, 0xbf737871, v76
	v_sub_f32_e32 v77, v85, v81
	v_sub_f32_e32 v81, v89, v93
	v_fmac_f32_e32 v88, 0x3f167918, v74
	v_add_f32_e32 v77, v77, v81
	v_fmac_f32_e32 v88, 0x3e9e377a, v77
	v_mul_f32_e32 v93, 0x3f167918, v75
	v_mul_f32_e32 v81, 0xbf167918, v80
	v_fmac_f32_e32 v93, 0x3f4f1bbd, v80
	v_mul_f32_e32 v80, 0x3e9e377a, v88
	v_mul_f32_e32 v85, 0xbf737871, v88
	v_fmac_f32_e32 v80, 0x3f737871, v183
	v_fmac_f32_e32 v85, 0x3e9e377a, v183
	v_add_f32_e32 v183, v200, v80
	v_sub_f32_e32 v193, v200, v80
	v_add_f32_e32 v80, v72, v96
	v_fmac_f32_e32 v84, 0x3f737871, v76
	v_mul_f32_e32 v92, 0xbf167918, v188
	v_add_f32_e32 v80, v80, v100
	v_fmac_f32_e32 v84, 0xbf167918, v74
	v_fmac_f32_e32 v92, 0xbf4f1bbd, v187
	v_add_f32_e32 v80, v80, v194
	v_fmac_f32_e32 v84, 0x3e9e377a, v77
	v_add_f32_e32 v74, v98, v180
	v_add_f32_e32 v186, v99, v92
	v_mul_f32_e32 v88, 0xbf4f1bbd, v188
	v_sub_f32_e32 v188, v98, v180
	v_sub_f32_e32 v180, v99, v92
	v_add_f32_e32 v92, v80, v202
	v_add_f32_e32 v80, v100, v194
	v_mul_f32_e32 v89, 0xbf737871, v84
	v_add_f32_e32 v77, v191, v93
	v_mul_f32_e32 v84, 0xbe9e377a, v84
	v_sub_f32_e32 v191, v191, v93
	v_fma_f32 v93, -0.5, v80, v72
	v_fmac_f32_e32 v81, 0x3f4f1bbd, v75
	v_fmac_f32_e32 v84, 0x3f737871, v185
	v_sub_f32_e32 v80, v97, v203
	v_mov_b32_e32 v98, v93
	v_add_f32_e32 v76, v102, v81
	v_add_f32_e32 v182, v178, v85
	v_fmac_f32_e32 v89, 0xbe9e377a, v185
	v_add_f32_e32 v75, v179, v189
	v_add_f32_e32 v185, v181, v84
	v_sub_f32_e32 v190, v102, v81
	v_sub_f32_e32 v192, v178, v85
	;; [unrolled: 1-line block ×4, first 2 shown]
	v_fmac_f32_e32 v98, 0xbf737871, v80
	v_sub_f32_e32 v81, v101, v195
	v_sub_f32_e32 v84, v96, v100
	;; [unrolled: 1-line block ×3, first 2 shown]
	v_fmac_f32_e32 v93, 0x3f737871, v80
	v_fmac_f32_e32 v98, 0xbf167918, v81
	v_add_f32_e32 v84, v84, v85
	v_fmac_f32_e32 v93, 0x3f167918, v81
	v_fmac_f32_e32 v98, 0x3e9e377a, v84
	;; [unrolled: 1-line block ×3, first 2 shown]
	v_add_f32_e32 v84, v96, v202
	v_fma_f32 v72, -0.5, v84, v72
	v_mov_b32_e32 v99, v72
	v_fmac_f32_e32 v99, 0x3f737871, v81
	v_fmac_f32_e32 v72, 0xbf737871, v81
	;; [unrolled: 1-line block ×4, first 2 shown]
	v_add_f32_e32 v80, v73, v97
	v_add_f32_e32 v80, v80, v101
	;; [unrolled: 1-line block ×6, first 2 shown]
	v_sub_f32_e32 v178, v103, v89
	v_sub_f32_e32 v84, v100, v96
	;; [unrolled: 1-line block ×3, first 2 shown]
	v_fma_f32 v103, -0.5, v80, v73
	v_add_f32_e32 v84, v84, v85
	v_sub_f32_e32 v80, v96, v202
	v_mov_b32_e32 v200, v103
	v_fmac_f32_e32 v99, 0x3e9e377a, v84
	v_fmac_f32_e32 v72, 0x3e9e377a, v84
	;; [unrolled: 1-line block ×3, first 2 shown]
	v_sub_f32_e32 v81, v100, v194
	v_sub_f32_e32 v84, v97, v101
	;; [unrolled: 1-line block ×3, first 2 shown]
	v_fmac_f32_e32 v103, 0xbf737871, v80
	v_fmac_f32_e32 v200, 0x3f167918, v81
	v_add_f32_e32 v84, v84, v85
	v_fmac_f32_e32 v103, 0xbf167918, v81
	v_fmac_f32_e32 v200, 0x3e9e377a, v84
	;; [unrolled: 1-line block ×3, first 2 shown]
	v_add_f32_e32 v84, v97, v203
	v_fmac_f32_e32 v73, -0.5, v84
	v_mov_b32_e32 v100, v73
	v_fmac_f32_e32 v100, 0xbf737871, v81
	v_fmac_f32_e32 v73, 0x3f737871, v81
	;; [unrolled: 1-line block ×4, first 2 shown]
	v_add_f32_e32 v80, v78, v82
	v_add_f32_e32 v80, v80, v86
	;; [unrolled: 1-line block ×5, first 2 shown]
	v_sub_f32_e32 v84, v101, v97
	v_sub_f32_e32 v85, v195, v203
	v_fma_f32 v89, -0.5, v80, v78
	v_fmac_f32_e32 v88, 0x3f167918, v187
	v_add_f32_e32 v84, v84, v85
	v_sub_f32_e32 v80, v83, v95
	v_mov_b32_e32 v85, v89
	v_add_f32_e32 v187, v220, v88
	v_sub_f32_e32 v181, v220, v88
	v_fmac_f32_e32 v100, 0x3e9e377a, v84
	v_fmac_f32_e32 v73, 0x3e9e377a, v84
	v_fmac_f32_e32 v85, 0xbf737871, v80
	v_sub_f32_e32 v81, v87, v91
	v_sub_f32_e32 v84, v82, v86
	;; [unrolled: 1-line block ×3, first 2 shown]
	v_fmac_f32_e32 v89, 0x3f737871, v80
	v_fmac_f32_e32 v85, 0xbf167918, v81
	v_add_f32_e32 v84, v84, v88
	v_fmac_f32_e32 v89, 0x3f167918, v81
	v_fmac_f32_e32 v85, 0x3e9e377a, v84
	;; [unrolled: 1-line block ×3, first 2 shown]
	v_add_f32_e32 v84, v82, v94
	v_fma_f32 v78, -0.5, v84, v78
	v_mov_b32_e32 v97, v78
	v_fmac_f32_e32 v97, 0x3f737871, v81
	v_fmac_f32_e32 v78, 0xbf737871, v81
	v_fmac_f32_e32 v97, 0xbf167918, v80
	v_fmac_f32_e32 v78, 0x3f167918, v80
	v_add_f32_e32 v80, v79, v83
	v_add_f32_e32 v80, v80, v87
	;; [unrolled: 1-line block ×5, first 2 shown]
	v_sub_f32_e32 v84, v86, v82
	v_sub_f32_e32 v88, v90, v94
	v_fma_f32 v194, -0.5, v80, v79
	v_add_f32_e32 v84, v84, v88
	v_sub_f32_e32 v80, v82, v94
	v_mov_b32_e32 v94, v194
	v_fmac_f32_e32 v97, 0x3e9e377a, v84
	v_fmac_f32_e32 v78, 0x3e9e377a, v84
	;; [unrolled: 1-line block ×3, first 2 shown]
	v_sub_f32_e32 v81, v86, v90
	v_sub_f32_e32 v82, v83, v87
	;; [unrolled: 1-line block ×3, first 2 shown]
	v_fmac_f32_e32 v194, 0xbf737871, v80
	v_fmac_f32_e32 v94, 0x3f167918, v81
	v_add_f32_e32 v82, v82, v84
	v_fmac_f32_e32 v194, 0xbf167918, v81
	v_fmac_f32_e32 v94, 0x3e9e377a, v82
	v_fmac_f32_e32 v194, 0x3e9e377a, v82
	v_add_f32_e32 v82, v83, v95
	v_fmac_f32_e32 v79, -0.5, v82
	v_mov_b32_e32 v90, v79
	v_sub_f32_e32 v82, v87, v83
	v_sub_f32_e32 v83, v91, v95
	v_fmac_f32_e32 v79, 0x3f737871, v81
	v_fmac_f32_e32 v90, 0xbf737871, v81
	v_add_f32_e32 v82, v82, v83
	v_fmac_f32_e32 v79, 0xbf167918, v80
	v_fmac_f32_e32 v90, 0x3f167918, v80
	v_fmac_f32_e32 v79, 0x3e9e377a, v82
	v_fmac_f32_e32 v90, 0x3e9e377a, v82
	v_mul_f32_e32 v195, 0xbf737871, v79
	v_mul_f32_e32 v79, 0xbe9e377a, v79
	;; [unrolled: 1-line block ×4, first 2 shown]
	v_fmac_f32_e32 v195, 0xbe9e377a, v78
	v_mul_f32_e32 v201, 0xbf167918, v194
	v_mul_f32_e32 v202, 0x3f167918, v85
	;; [unrolled: 1-line block ×3, first 2 shown]
	v_fmac_f32_e32 v79, 0x3f737871, v78
	v_mul_f32_e32 v78, 0xbf4f1bbd, v194
	v_fmac_f32_e32 v91, 0x3f4f1bbd, v85
	v_fmac_f32_e32 v95, 0x3e9e377a, v97
	;; [unrolled: 1-line block ×6, first 2 shown]
	v_add_f32_e32 v80, v92, v96
	v_add_f32_e32 v82, v98, v91
	;; [unrolled: 1-line block ×10, first 2 shown]
	v_sub_f32_e32 v90, v92, v96
	v_sub_f32_e32 v92, v98, v91
	v_sub_f32_e32 v94, v99, v95
	v_sub_f32_e32 v96, v72, v195
	v_sub_f32_e32 v98, v93, v201
	v_sub_f32_e32 v91, v102, v101
	v_sub_f32_e32 v93, v200, v202
	v_sub_f32_e32 v95, v100, v203
	v_sub_f32_e32 v97, v73, v79
	v_sub_f32_e32 v99, v103, v78
	s_waitcnt lgkmcnt(0)
	; wave barrier
	ds_write_b128 v173, v[196:199]
	ds_write_b128 v173, v[204:207] offset:16
	ds_write_b128 v173, v[208:211] offset:32
	ds_write_b128 v173, v[212:215] offset:48
	ds_write_b128 v173, v[216:219] offset:64
	ds_write_b128 v174, v[74:77]
	ds_write_b128 v174, v[182:185] offset:16
	ds_write_b128 v174, v[186:189] offset:32
	ds_write_b128 v174, v[190:193] offset:48
	ds_write_b128 v174, v[178:181] offset:64
	;; [unrolled: 5-line block ×3, first 2 shown]
	s_waitcnt lgkmcnt(0)
	; wave barrier
	s_waitcnt lgkmcnt(0)
	ds_read2_b64 v[80:83], v168 offset1:5
	ds_read2_b64 v[84:87], v168 offset0:30 offset1:35
	ds_read2_b64 v[88:91], v168 offset0:60 offset1:65
	;; [unrolled: 1-line block ×14, first 2 shown]
	s_waitcnt lgkmcnt(13)
	v_mul_f32_e32 v173, v9, v85
	v_fmac_f32_e32 v173, v8, v84
	v_mul_f32_e32 v84, v9, v84
	v_fma_f32 v84, v8, v85, -v84
	s_waitcnt lgkmcnt(12)
	v_mul_f32_e32 v85, v11, v89
	v_fmac_f32_e32 v85, v10, v88
	v_mul_f32_e32 v88, v11, v88
	v_fma_f32 v88, v10, v89, -v88
	;; [unrolled: 5-line block ×4, first 2 shown]
	v_mul_f32_e32 v97, v13, v87
	v_fmac_f32_e32 v97, v12, v86
	v_mul_f32_e32 v86, v13, v86
	v_fma_f32 v86, v12, v87, -v86
	v_mul_f32_e32 v87, v15, v91
	v_fmac_f32_e32 v87, v14, v90
	v_mul_f32_e32 v90, v15, v90
	v_fma_f32 v90, v14, v91, -v90
	;; [unrolled: 4-line block ×4, first 2 shown]
	s_waitcnt lgkmcnt(8)
	v_mul_f32_e32 v99, v9, v101
	v_mul_f32_e32 v9, v9, v100
	v_fmac_f32_e32 v99, v8, v100
	v_fma_f32 v100, v8, v101, -v9
	s_waitcnt lgkmcnt(7)
	v_mul_f32_e32 v101, v11, v179
	s_waitcnt lgkmcnt(6)
	v_mul_f32_e32 v175, v1, v183
	v_mul_f32_e32 v1, v1, v182
	v_fmac_f32_e32 v101, v10, v178
	v_mul_f32_e32 v8, v11, v178
	v_fmac_f32_e32 v175, v0, v182
	v_fma_f32 v178, v0, v183, -v1
	s_waitcnt lgkmcnt(5)
	v_mul_f32_e32 v0, v3, v186
	v_fma_f32 v182, v2, v187, -v0
	v_mul_f32_e32 v183, v13, v103
	v_mul_f32_e32 v0, v13, v102
	v_fma_f32 v174, v10, v179, -v8
	v_mul_f32_e32 v179, v3, v187
	v_fmac_f32_e32 v183, v12, v102
	v_fma_f32 v102, v12, v103, -v0
	v_mul_f32_e32 v103, v15, v181
	v_mul_f32_e32 v0, v15, v180
	v_add_f32_e32 v1, v85, v89
	v_fmac_f32_e32 v179, v2, v186
	v_fmac_f32_e32 v103, v14, v180
	v_fma_f32 v180, v14, v181, -v0
	v_mul_f32_e32 v181, v5, v185
	v_mul_f32_e32 v0, v5, v184
	v_fma_f32 v2, -0.5, v1, v80
	v_fmac_f32_e32 v181, v4, v184
	v_fma_f32 v184, v4, v185, -v0
	v_mul_f32_e32 v185, v7, v189
	v_mul_f32_e32 v0, v7, v188
	v_sub_f32_e32 v1, v84, v96
	v_mov_b32_e32 v4, v2
	v_fmac_f32_e32 v185, v6, v188
	v_fma_f32 v186, v6, v189, -v0
	v_fmac_f32_e32 v4, 0xbf737871, v1
	v_sub_f32_e32 v3, v88, v92
	v_sub_f32_e32 v5, v173, v85
	;; [unrolled: 1-line block ×3, first 2 shown]
	v_fmac_f32_e32 v2, 0x3f737871, v1
	v_fmac_f32_e32 v4, 0xbf167918, v3
	v_add_f32_e32 v5, v5, v6
	v_fmac_f32_e32 v2, 0x3f167918, v3
	v_fmac_f32_e32 v4, 0x3e9e377a, v5
	;; [unrolled: 1-line block ×3, first 2 shown]
	v_add_f32_e32 v5, v173, v93
	v_fma_f32 v6, -0.5, v5, v80
	v_mov_b32_e32 v8, v6
	v_fmac_f32_e32 v8, 0x3f737871, v3
	v_sub_f32_e32 v5, v85, v173
	v_sub_f32_e32 v7, v89, v93
	v_fmac_f32_e32 v6, 0xbf737871, v3
	v_add_f32_e32 v3, v88, v92
	v_fmac_f32_e32 v8, 0xbf167918, v1
	v_add_f32_e32 v5, v5, v7
	v_fmac_f32_e32 v6, 0x3f167918, v1
	v_fma_f32 v3, -0.5, v3, v81
	v_fmac_f32_e32 v8, 0x3e9e377a, v5
	v_fmac_f32_e32 v6, 0x3e9e377a, v5
	v_sub_f32_e32 v10, v173, v93
	v_mov_b32_e32 v5, v3
	v_fmac_f32_e32 v5, 0x3f737871, v10
	v_sub_f32_e32 v11, v85, v89
	v_sub_f32_e32 v7, v84, v88
	;; [unrolled: 1-line block ×3, first 2 shown]
	v_fmac_f32_e32 v3, 0xbf737871, v10
	v_fmac_f32_e32 v5, 0x3f167918, v11
	v_add_f32_e32 v7, v7, v9
	v_fmac_f32_e32 v3, 0xbf167918, v11
	v_fmac_f32_e32 v5, 0x3e9e377a, v7
	;; [unrolled: 1-line block ×3, first 2 shown]
	v_add_f32_e32 v7, v84, v96
	v_fma_f32 v7, -0.5, v7, v81
	v_mov_b32_e32 v9, v7
	v_fmac_f32_e32 v9, 0xbf737871, v11
	v_sub_f32_e32 v12, v88, v84
	v_sub_f32_e32 v13, v92, v96
	v_fmac_f32_e32 v7, 0x3f737871, v11
	s_waitcnt lgkmcnt(3)
	v_mul_f32_e32 v0, v21, v190
	v_fmac_f32_e32 v9, 0x3f167918, v10
	v_add_f32_e32 v12, v12, v13
	v_fmac_f32_e32 v7, 0xbf167918, v10
	v_add_f32_e32 v11, v87, v91
	v_mul_f32_e32 v187, v21, v191
	v_fma_f32 v188, v20, v191, -v0
	s_waitcnt lgkmcnt(2)
	v_mul_f32_e32 v0, v23, v194
	v_fmac_f32_e32 v9, 0x3e9e377a, v12
	v_fmac_f32_e32 v7, 0x3e9e377a, v12
	v_fma_f32 v12, -0.5, v11, v82
	v_fmac_f32_e32 v187, v20, v190
	v_mul_f32_e32 v189, v23, v195
	v_fma_f32 v190, v22, v195, -v0
	s_waitcnt lgkmcnt(1)
	v_mul_f32_e32 v191, v17, v199
	v_mul_f32_e32 v0, v17, v198
	v_sub_f32_e32 v11, v86, v98
	v_mov_b32_e32 v14, v12
	v_fmac_f32_e32 v189, v22, v194
	v_fmac_f32_e32 v191, v16, v198
	v_fma_f32 v194, v16, v199, -v0
	v_fmac_f32_e32 v14, 0xbf737871, v11
	v_sub_f32_e32 v13, v90, v94
	v_sub_f32_e32 v15, v97, v87
	;; [unrolled: 1-line block ×3, first 2 shown]
	v_fmac_f32_e32 v12, 0x3f737871, v11
	v_fmac_f32_e32 v14, 0xbf167918, v13
	v_add_f32_e32 v15, v15, v16
	v_fmac_f32_e32 v12, 0x3f167918, v13
	v_fmac_f32_e32 v14, 0x3e9e377a, v15
	;; [unrolled: 1-line block ×3, first 2 shown]
	v_add_f32_e32 v15, v97, v95
	v_add_f32_e32 v10, v82, v97
	v_fma_f32 v82, -0.5, v15, v82
	v_mov_b32_e32 v16, v82
	v_fmac_f32_e32 v16, 0x3f737871, v13
	v_sub_f32_e32 v15, v87, v97
	v_sub_f32_e32 v17, v91, v95
	v_fmac_f32_e32 v82, 0xbf737871, v13
	v_add_f32_e32 v13, v90, v94
	s_waitcnt lgkmcnt(0)
	v_mul_f32_e32 v195, v19, v203
	v_mul_f32_e32 v0, v19, v202
	v_fmac_f32_e32 v16, 0xbf167918, v11
	v_add_f32_e32 v15, v15, v17
	v_fmac_f32_e32 v82, 0x3f167918, v11
	v_fma_f32 v13, -0.5, v13, v83
	v_fmac_f32_e32 v195, v18, v202
	v_fma_f32 v198, v18, v203, -v0
	v_fmac_f32_e32 v16, 0x3e9e377a, v15
	v_fmac_f32_e32 v82, 0x3e9e377a, v15
	v_sub_f32_e32 v18, v97, v95
	v_mov_b32_e32 v15, v13
	v_fmac_f32_e32 v15, 0x3f737871, v18
	v_sub_f32_e32 v19, v87, v91
	v_sub_f32_e32 v17, v86, v90
	;; [unrolled: 1-line block ×3, first 2 shown]
	v_fmac_f32_e32 v13, 0xbf737871, v18
	v_fmac_f32_e32 v15, 0x3f167918, v19
	v_add_f32_e32 v17, v17, v20
	v_fmac_f32_e32 v13, 0xbf167918, v19
	v_fmac_f32_e32 v15, 0x3e9e377a, v17
	;; [unrolled: 1-line block ×3, first 2 shown]
	v_add_f32_e32 v17, v86, v98
	v_add_f32_e32 v11, v83, v86
	v_fmac_f32_e32 v83, -0.5, v17
	v_mov_b32_e32 v17, v83
	v_fmac_f32_e32 v17, 0xbf737871, v19
	v_sub_f32_e32 v20, v90, v86
	v_sub_f32_e32 v21, v94, v98
	v_fmac_f32_e32 v83, 0x3f737871, v19
	v_mul_f32_e32 v199, v29, v193
	v_mul_f32_e32 v0, v29, v192
	v_fmac_f32_e32 v17, 0x3f167918, v18
	v_add_f32_e32 v20, v20, v21
	v_fmac_f32_e32 v83, 0xbf167918, v18
	v_add_f32_e32 v19, v101, v175
	v_fmac_f32_e32 v199, v28, v192
	v_fma_f32 v192, v28, v193, -v0
	v_mul_f32_e32 v193, v31, v197
	v_mul_f32_e32 v0, v31, v196
	v_fmac_f32_e32 v17, 0x3e9e377a, v20
	v_fmac_f32_e32 v83, 0x3e9e377a, v20
	v_fma_f32 v20, -0.5, v19, v76
	v_fmac_f32_e32 v193, v30, v196
	v_fma_f32 v196, v30, v197, -v0
	v_mul_f32_e32 v197, v25, v201
	v_mul_f32_e32 v0, v25, v200
	v_sub_f32_e32 v19, v100, v182
	v_mov_b32_e32 v22, v20
	v_fmac_f32_e32 v197, v24, v200
	v_fma_f32 v200, v24, v201, -v0
	v_fmac_f32_e32 v22, 0xbf737871, v19
	v_sub_f32_e32 v21, v174, v178
	v_sub_f32_e32 v23, v99, v101
	;; [unrolled: 1-line block ×3, first 2 shown]
	v_fmac_f32_e32 v20, 0x3f737871, v19
	v_fmac_f32_e32 v22, 0xbf167918, v21
	v_add_f32_e32 v23, v23, v24
	v_fmac_f32_e32 v20, 0x3f167918, v21
	v_fmac_f32_e32 v22, 0x3e9e377a, v23
	;; [unrolled: 1-line block ×3, first 2 shown]
	v_add_f32_e32 v23, v99, v179
	v_mul_f32_e32 v201, v27, v205
	v_mul_f32_e32 v0, v27, v204
	v_fma_f32 v24, -0.5, v23, v76
	v_fmac_f32_e32 v201, v26, v204
	v_fma_f32 v202, v26, v205, -v0
	v_mov_b32_e32 v26, v24
	v_fmac_f32_e32 v26, 0x3f737871, v21
	v_sub_f32_e32 v23, v101, v99
	v_sub_f32_e32 v25, v175, v179
	v_fmac_f32_e32 v24, 0xbf737871, v21
	v_add_f32_e32 v21, v174, v178
	v_fmac_f32_e32 v26, 0xbf167918, v19
	v_add_f32_e32 v23, v23, v25
	v_fmac_f32_e32 v24, 0x3f167918, v19
	v_fma_f32 v21, -0.5, v21, v77
	v_fmac_f32_e32 v26, 0x3e9e377a, v23
	v_fmac_f32_e32 v24, 0x3e9e377a, v23
	v_sub_f32_e32 v28, v99, v179
	v_mov_b32_e32 v23, v21
	v_fmac_f32_e32 v23, 0x3f737871, v28
	v_sub_f32_e32 v29, v101, v175
	v_sub_f32_e32 v25, v100, v174
	;; [unrolled: 1-line block ×3, first 2 shown]
	v_fmac_f32_e32 v21, 0xbf737871, v28
	v_fmac_f32_e32 v23, 0x3f167918, v29
	v_add_f32_e32 v25, v25, v27
	v_fmac_f32_e32 v21, 0xbf167918, v29
	v_fmac_f32_e32 v23, 0x3e9e377a, v25
	;; [unrolled: 1-line block ×3, first 2 shown]
	v_add_f32_e32 v25, v100, v182
	v_fma_f32 v25, -0.5, v25, v77
	v_mov_b32_e32 v27, v25
	v_fmac_f32_e32 v27, 0xbf737871, v29
	v_sub_f32_e32 v30, v174, v100
	v_sub_f32_e32 v31, v178, v182
	v_fmac_f32_e32 v25, 0x3f737871, v29
	v_fmac_f32_e32 v27, 0x3f167918, v28
	v_add_f32_e32 v30, v30, v31
	v_fmac_f32_e32 v25, 0xbf167918, v28
	v_add_f32_e32 v29, v103, v181
	v_fmac_f32_e32 v27, 0x3e9e377a, v30
	v_fmac_f32_e32 v25, 0x3e9e377a, v30
	v_fma_f32 v30, -0.5, v29, v78
	v_add_f32_e32 v18, v76, v99
	v_sub_f32_e32 v29, v102, v186
	v_mov_b32_e32 v76, v30
	v_add_f32_e32 v0, v80, v173
	v_add_f32_e32 v19, v77, v100
	v_fmac_f32_e32 v76, 0xbf737871, v29
	v_sub_f32_e32 v31, v180, v184
	v_sub_f32_e32 v77, v183, v103
	;; [unrolled: 1-line block ×3, first 2 shown]
	v_fmac_f32_e32 v30, 0x3f737871, v29
	v_fmac_f32_e32 v76, 0xbf167918, v31
	v_add_f32_e32 v77, v77, v80
	v_fmac_f32_e32 v30, 0x3f167918, v31
	v_fmac_f32_e32 v76, 0x3e9e377a, v77
	;; [unrolled: 1-line block ×3, first 2 shown]
	v_add_f32_e32 v77, v183, v185
	v_add_f32_e32 v28, v78, v183
	v_fma_f32 v78, -0.5, v77, v78
	v_mov_b32_e32 v80, v78
	v_add_f32_e32 v1, v81, v84
	v_fmac_f32_e32 v80, 0x3f737871, v31
	v_sub_f32_e32 v77, v103, v183
	v_sub_f32_e32 v81, v181, v185
	v_fmac_f32_e32 v78, 0xbf737871, v31
	v_add_f32_e32 v31, v180, v184
	v_fmac_f32_e32 v80, 0xbf167918, v29
	v_add_f32_e32 v77, v77, v81
	v_fmac_f32_e32 v78, 0x3f167918, v29
	v_fma_f32 v31, -0.5, v31, v79
	v_fmac_f32_e32 v80, 0x3e9e377a, v77
	v_fmac_f32_e32 v78, 0x3e9e377a, v77
	v_sub_f32_e32 v84, v183, v185
	v_mov_b32_e32 v77, v31
	v_add_f32_e32 v0, v0, v85
	v_fmac_f32_e32 v77, 0x3f737871, v84
	v_sub_f32_e32 v85, v103, v181
	v_sub_f32_e32 v81, v102, v180
	;; [unrolled: 1-line block ×3, first 2 shown]
	v_fmac_f32_e32 v31, 0xbf737871, v84
	v_fmac_f32_e32 v77, 0x3f167918, v85
	v_add_f32_e32 v81, v81, v86
	v_fmac_f32_e32 v31, 0xbf167918, v85
	v_fmac_f32_e32 v77, 0x3e9e377a, v81
	;; [unrolled: 1-line block ×3, first 2 shown]
	v_add_f32_e32 v81, v102, v186
	v_add_f32_e32 v29, v79, v102
	v_fmac_f32_e32 v79, -0.5, v81
	v_mov_b32_e32 v81, v79
	v_add_f32_e32 v10, v10, v87
	v_fmac_f32_e32 v81, 0xbf737871, v85
	v_sub_f32_e32 v86, v180, v102
	v_sub_f32_e32 v87, v184, v186
	v_fmac_f32_e32 v79, 0x3f737871, v85
	v_fmac_f32_e32 v81, 0x3f167918, v84
	v_add_f32_e32 v86, v86, v87
	v_fmac_f32_e32 v79, 0xbf167918, v84
	v_add_f32_e32 v85, v189, v191
	v_fmac_f32_e32 v81, 0x3e9e377a, v86
	v_fmac_f32_e32 v79, 0x3e9e377a, v86
	v_fma_f32 v86, -0.5, v85, v72
	v_add_f32_e32 v1, v1, v88
	v_sub_f32_e32 v85, v188, v198
	v_mov_b32_e32 v88, v86
	v_add_f32_e32 v0, v0, v89
	v_add_f32_e32 v11, v11, v90
	v_fmac_f32_e32 v88, 0xbf737871, v85
	v_sub_f32_e32 v87, v190, v194
	v_sub_f32_e32 v89, v187, v189
	;; [unrolled: 1-line block ×3, first 2 shown]
	v_fmac_f32_e32 v86, 0x3f737871, v85
	v_fmac_f32_e32 v88, 0xbf167918, v87
	v_add_f32_e32 v89, v89, v90
	v_fmac_f32_e32 v86, 0x3f167918, v87
	v_fmac_f32_e32 v88, 0x3e9e377a, v89
	;; [unrolled: 1-line block ×3, first 2 shown]
	v_add_f32_e32 v89, v187, v195
	v_add_f32_e32 v84, v72, v187
	v_fma_f32 v72, -0.5, v89, v72
	v_mov_b32_e32 v90, v72
	v_add_f32_e32 v10, v10, v91
	v_fmac_f32_e32 v90, 0x3f737871, v87
	v_sub_f32_e32 v89, v189, v187
	v_sub_f32_e32 v91, v191, v195
	v_fmac_f32_e32 v72, 0xbf737871, v87
	v_add_f32_e32 v87, v190, v194
	v_fmac_f32_e32 v90, 0xbf167918, v85
	v_add_f32_e32 v89, v89, v91
	v_fmac_f32_e32 v72, 0x3f167918, v85
	v_fma_f32 v87, -0.5, v87, v73
	v_add_f32_e32 v1, v1, v92
	v_fmac_f32_e32 v90, 0x3e9e377a, v89
	v_fmac_f32_e32 v72, 0x3e9e377a, v89
	v_sub_f32_e32 v92, v187, v195
	v_mov_b32_e32 v89, v87
	v_add_f32_e32 v0, v0, v93
	v_add_f32_e32 v11, v11, v94
	v_fmac_f32_e32 v89, 0x3f737871, v92
	v_sub_f32_e32 v93, v189, v191
	v_sub_f32_e32 v91, v188, v190
	;; [unrolled: 1-line block ×3, first 2 shown]
	v_fmac_f32_e32 v87, 0xbf737871, v92
	v_fmac_f32_e32 v89, 0x3f167918, v93
	v_add_f32_e32 v91, v91, v94
	v_fmac_f32_e32 v87, 0xbf167918, v93
	v_fmac_f32_e32 v89, 0x3e9e377a, v91
	;; [unrolled: 1-line block ×3, first 2 shown]
	v_add_f32_e32 v91, v188, v198
	v_add_f32_e32 v85, v73, v188
	v_fma_f32 v73, -0.5, v91, v73
	v_mov_b32_e32 v91, v73
	v_add_f32_e32 v10, v10, v95
	v_fmac_f32_e32 v91, 0xbf737871, v93
	v_sub_f32_e32 v94, v190, v188
	v_sub_f32_e32 v95, v194, v198
	v_fmac_f32_e32 v73, 0x3f737871, v93
	v_fmac_f32_e32 v91, 0x3f167918, v92
	v_add_f32_e32 v94, v94, v95
	v_fmac_f32_e32 v73, 0xbf167918, v92
	v_add_f32_e32 v93, v193, v197
	v_fmac_f32_e32 v91, 0x3e9e377a, v94
	v_fmac_f32_e32 v73, 0x3e9e377a, v94
	v_fma_f32 v94, -0.5, v93, v74
	v_add_f32_e32 v1, v1, v96
	v_sub_f32_e32 v93, v192, v202
	v_mov_b32_e32 v96, v94
	v_add_f32_e32 v11, v11, v98
	v_fmac_f32_e32 v96, 0xbf737871, v93
	v_sub_f32_e32 v95, v196, v200
	v_sub_f32_e32 v97, v199, v193
	;; [unrolled: 1-line block ×3, first 2 shown]
	v_fmac_f32_e32 v94, 0x3f737871, v93
	v_fmac_f32_e32 v96, 0xbf167918, v95
	v_add_f32_e32 v97, v97, v98
	v_fmac_f32_e32 v94, 0x3f167918, v95
	v_fmac_f32_e32 v96, 0x3e9e377a, v97
	;; [unrolled: 1-line block ×3, first 2 shown]
	v_add_f32_e32 v97, v199, v201
	v_add_f32_e32 v92, v74, v199
	v_fma_f32 v74, -0.5, v97, v74
	v_mov_b32_e32 v98, v74
	v_fmac_f32_e32 v98, 0x3f737871, v95
	v_sub_f32_e32 v97, v193, v199
	v_sub_f32_e32 v99, v197, v201
	v_fmac_f32_e32 v74, 0xbf737871, v95
	v_add_f32_e32 v95, v196, v200
	v_fmac_f32_e32 v98, 0xbf167918, v93
	v_add_f32_e32 v97, v97, v99
	v_fmac_f32_e32 v74, 0x3f167918, v93
	v_fma_f32 v95, -0.5, v95, v75
	v_fmac_f32_e32 v98, 0x3e9e377a, v97
	v_fmac_f32_e32 v74, 0x3e9e377a, v97
	v_sub_f32_e32 v100, v199, v201
	v_mov_b32_e32 v97, v95
	v_add_f32_e32 v18, v18, v101
	v_fmac_f32_e32 v97, 0x3f737871, v100
	v_sub_f32_e32 v101, v193, v197
	v_sub_f32_e32 v99, v192, v196
	;; [unrolled: 1-line block ×3, first 2 shown]
	v_fmac_f32_e32 v95, 0xbf737871, v100
	v_fmac_f32_e32 v97, 0x3f167918, v101
	v_add_f32_e32 v99, v99, v102
	v_fmac_f32_e32 v95, 0xbf167918, v101
	v_fmac_f32_e32 v97, 0x3e9e377a, v99
	v_fmac_f32_e32 v95, 0x3e9e377a, v99
	v_add_f32_e32 v99, v192, v202
	v_add_f32_e32 v93, v75, v192
	v_fmac_f32_e32 v75, -0.5, v99
	v_mov_b32_e32 v99, v75
	v_add_f32_e32 v19, v19, v174
	v_add_f32_e32 v28, v28, v103
	;; [unrolled: 1-line block ×7, first 2 shown]
	v_fmac_f32_e32 v99, 0xbf737871, v101
	v_sub_f32_e32 v102, v196, v192
	v_sub_f32_e32 v103, v200, v202
	v_fmac_f32_e32 v75, 0x3f737871, v101
	v_add_f32_e32 v18, v18, v175
	v_add_f32_e32 v19, v19, v178
	;; [unrolled: 1-line block ×8, first 2 shown]
	v_fmac_f32_e32 v99, 0x3f167918, v100
	v_add_f32_e32 v102, v102, v103
	v_fmac_f32_e32 v75, 0xbf167918, v100
	v_add_f32_e32 v18, v18, v179
	v_add_f32_e32 v19, v19, v182
	;; [unrolled: 1-line block ×8, first 2 shown]
	v_fmac_f32_e32 v99, 0x3e9e377a, v102
	v_fmac_f32_e32 v75, 0x3e9e377a, v102
	s_waitcnt lgkmcnt(0)
	; wave barrier
	ds_write2_b64 v168, v[0:1], v[10:11] offset1:5
	ds_write2_b64 v168, v[4:5], v[14:15] offset0:10 offset1:15
	ds_write2_b64 v168, v[8:9], v[16:17] offset0:20 offset1:25
	;; [unrolled: 1-line block ×11, first 2 shown]
	ds_write_b64 v176, v[86:87] offset:1120
	ds_write2_b64 v177, v[92:93], v[96:97] offset0:100 offset1:110
	ds_write2_b64 v177, v[98:99], v[74:75] offset0:120 offset1:130
	ds_write_b64 v177, v[94:95] offset:1120
	s_waitcnt lgkmcnt(0)
	; wave barrier
	s_waitcnt lgkmcnt(0)
	ds_read2_b64 v[0:3], v168 offset1:5
	ds_read2_b64 v[4:7], v168 offset0:50 offset1:55
	ds_read2_b64 v[8:11], v168 offset0:100 offset1:105
	;; [unrolled: 1-line block ×14, first 2 shown]
	s_waitcnt lgkmcnt(13)
	v_mul_f32_e32 v100, v33, v5
	v_fmac_f32_e32 v100, v32, v4
	v_mul_f32_e32 v4, v33, v4
	v_fma_f32 v32, v32, v5, -v4
	s_waitcnt lgkmcnt(12)
	v_mul_f32_e32 v33, v35, v9
	v_mul_f32_e32 v4, v35, v8
	v_fmac_f32_e32 v33, v34, v8
	v_fma_f32 v8, v34, v9, -v4
	v_mul_f32_e32 v4, v37, v6
	v_mul_f32_e32 v34, v37, v7
	v_fma_f32 v35, v36, v7, -v4
	v_mul_f32_e32 v4, v39, v10
	v_fmac_f32_e32 v34, v36, v6
	v_mul_f32_e32 v36, v39, v11
	v_fma_f32 v11, v38, v11, -v4
	s_waitcnt lgkmcnt(10)
	v_mul_f32_e32 v4, v41, v16
	v_fmac_f32_e32 v36, v38, v10
	v_fma_f32 v38, v40, v17, -v4
	s_waitcnt lgkmcnt(9)
	v_mul_f32_e32 v39, v43, v21
	v_mul_f32_e32 v4, v43, v20
	v_fmac_f32_e32 v39, v42, v20
	v_fma_f32 v20, v42, v21, -v4
	v_mul_f32_e32 v4, v45, v18
	v_mul_f32_e32 v37, v41, v17
	v_fma_f32 v41, v44, v19, -v4
	v_mul_f32_e32 v4, v47, v22
	v_fmac_f32_e32 v37, v40, v16
	v_mul_f32_e32 v40, v45, v19
	v_mul_f32_e32 v42, v47, v23
	v_fma_f32 v23, v46, v23, -v4
	s_waitcnt lgkmcnt(7)
	v_mul_f32_e32 v4, v49, v28
	v_fmac_f32_e32 v40, v44, v18
	v_fma_f32 v44, v48, v29, -v4
	s_waitcnt lgkmcnt(6)
	v_mul_f32_e32 v4, v51, v72
	v_fmac_f32_e32 v42, v46, v22
	v_mul_f32_e32 v43, v49, v29
	v_fma_f32 v46, v50, v73, -v4
	v_mul_f32_e32 v4, v53, v30
	v_fmac_f32_e32 v43, v48, v28
	v_mul_f32_e32 v45, v51, v73
	v_fma_f32 v48, v52, v31, -v4
	;; [unrolled: 4-line block ×3, first 2 shown]
	s_waitcnt lgkmcnt(4)
	v_mul_f32_e32 v4, v57, v80
	v_fmac_f32_e32 v47, v52, v30
	v_mul_f32_e32 v49, v55, v75
	v_fma_f32 v52, v56, v81, -v4
	s_waitcnt lgkmcnt(3)
	v_mul_f32_e32 v4, v59, v84
	v_fmac_f32_e32 v49, v54, v74
	v_mul_f32_e32 v51, v57, v81
	v_fma_f32 v54, v58, v85, -v4
	v_mul_f32_e32 v4, v61, v82
	v_fmac_f32_e32 v51, v56, v80
	v_mul_f32_e32 v53, v59, v85
	v_fma_f32 v56, v60, v83, -v4
	;; [unrolled: 4-line block ×3, first 2 shown]
	s_waitcnt lgkmcnt(1)
	v_mul_f32_e32 v4, v65, v92
	v_fmac_f32_e32 v55, v60, v82
	v_mul_f32_e32 v57, v63, v87
	v_fma_f32 v60, v64, v93, -v4
	s_waitcnt lgkmcnt(0)
	v_mul_f32_e32 v4, v67, v96
	v_fmac_f32_e32 v57, v62, v86
	v_mul_f32_e32 v59, v65, v93
	v_fma_f32 v62, v66, v97, -v4
	v_mul_f32_e32 v4, v69, v94
	v_fmac_f32_e32 v59, v64, v92
	v_mul_f32_e32 v61, v67, v97
	v_fma_f32 v64, v68, v95, -v4
	v_mul_f32_e32 v4, v71, v98
	v_add_f32_e32 v5, v100, v33
	v_fmac_f32_e32 v61, v66, v96
	v_fma_f32 v66, v70, v99, -v4
	v_add_f32_e32 v4, v0, v100
	v_fma_f32 v0, -0.5, v5, v0
	v_sub_f32_e32 v5, v32, v8
	v_mov_b32_e32 v6, v0
	v_add_f32_e32 v7, v32, v8
	v_fmac_f32_e32 v6, 0xbf5db3d7, v5
	v_fmac_f32_e32 v0, 0x3f5db3d7, v5
	v_add_f32_e32 v5, v1, v32
	v_fma_f32 v1, -0.5, v7, v1
	v_add_f32_e32 v5, v5, v8
	v_sub_f32_e32 v8, v100, v33
	v_mov_b32_e32 v7, v1
	v_add_f32_e32 v9, v34, v36
	v_fmac_f32_e32 v7, 0x3f5db3d7, v8
	v_fmac_f32_e32 v1, 0xbf5db3d7, v8
	v_add_f32_e32 v8, v2, v34
	v_fma_f32 v2, -0.5, v9, v2
	v_sub_f32_e32 v9, v35, v11
	v_mov_b32_e32 v10, v2
	v_fmac_f32_e32 v10, 0xbf5db3d7, v9
	v_fmac_f32_e32 v2, 0x3f5db3d7, v9
	v_add_f32_e32 v9, v3, v35
	v_add_f32_e32 v9, v9, v11
	;; [unrolled: 1-line block ×3, first 2 shown]
	v_fmac_f32_e32 v3, -0.5, v11
	v_sub_f32_e32 v16, v34, v36
	v_mov_b32_e32 v11, v3
	v_add_f32_e32 v17, v37, v39
	v_fmac_f32_e32 v11, 0x3f5db3d7, v16
	v_fmac_f32_e32 v3, 0xbf5db3d7, v16
	v_add_f32_e32 v16, v12, v37
	v_fma_f32 v12, -0.5, v17, v12
	v_sub_f32_e32 v17, v38, v20
	v_mov_b32_e32 v18, v12
	v_add_f32_e32 v19, v38, v20
	v_fmac_f32_e32 v18, 0xbf5db3d7, v17
	v_fmac_f32_e32 v12, 0x3f5db3d7, v17
	v_add_f32_e32 v17, v13, v38
	v_fma_f32 v13, -0.5, v19, v13
	v_add_f32_e32 v17, v17, v20
	v_sub_f32_e32 v20, v37, v39
	v_mov_b32_e32 v19, v13
	v_add_f32_e32 v21, v40, v42
	v_fmac_f32_e32 v19, 0x3f5db3d7, v20
	v_fmac_f32_e32 v13, 0xbf5db3d7, v20
	v_add_f32_e32 v20, v14, v40
	v_fma_f32 v14, -0.5, v21, v14
	v_sub_f32_e32 v21, v41, v23
	v_mov_b32_e32 v22, v14
	v_fmac_f32_e32 v22, 0xbf5db3d7, v21
	v_fmac_f32_e32 v14, 0x3f5db3d7, v21
	v_add_f32_e32 v21, v15, v41
	v_add_f32_e32 v21, v21, v23
	;; [unrolled: 1-line block ×3, first 2 shown]
	v_fmac_f32_e32 v15, -0.5, v23
	v_sub_f32_e32 v28, v40, v42
	v_mov_b32_e32 v23, v15
	v_add_f32_e32 v29, v43, v45
	v_fmac_f32_e32 v23, 0x3f5db3d7, v28
	v_fmac_f32_e32 v15, 0xbf5db3d7, v28
	v_add_f32_e32 v28, v24, v43
	v_fma_f32 v24, -0.5, v29, v24
	v_sub_f32_e32 v29, v44, v46
	v_mov_b32_e32 v30, v24
	v_add_f32_e32 v31, v44, v46
	v_fmac_f32_e32 v30, 0xbf5db3d7, v29
	v_fmac_f32_e32 v24, 0x3f5db3d7, v29
	v_add_f32_e32 v29, v25, v44
	v_fma_f32 v25, -0.5, v31, v25
	v_add_f32_e32 v4, v4, v33
	v_sub_f32_e32 v32, v43, v45
	v_mov_b32_e32 v31, v25
	v_add_f32_e32 v33, v47, v49
	v_fmac_f32_e32 v31, 0x3f5db3d7, v32
	v_fmac_f32_e32 v25, 0xbf5db3d7, v32
	v_add_f32_e32 v32, v26, v47
	v_fma_f32 v26, -0.5, v33, v26
	v_sub_f32_e32 v33, v48, v50
	v_mov_b32_e32 v34, v26
	v_add_f32_e32 v35, v48, v50
	v_add_f32_e32 v16, v16, v39
	v_fmac_f32_e32 v34, 0xbf5db3d7, v33
	v_fmac_f32_e32 v26, 0x3f5db3d7, v33
	v_add_f32_e32 v33, v27, v48
	v_fmac_f32_e32 v27, -0.5, v35
	v_add_f32_e32 v37, v51, v53
	v_add_f32_e32 v39, v52, v54
	v_mul_f32_e32 v63, v69, v95
	v_mul_f32_e32 v65, v71, v99
	v_add_f32_e32 v8, v8, v36
	v_add_f32_e32 v32, v32, v49
	v_sub_f32_e32 v36, v47, v49
	v_mov_b32_e32 v35, v27
	v_fma_f32 v38, -0.5, v37, v76
	v_fma_f32 v39, -0.5, v39, v77
	v_add_f32_e32 v49, v60, v62
	v_fmac_f32_e32 v63, v68, v94
	v_fmac_f32_e32 v65, v70, v98
	v_add_f32_e32 v20, v20, v42
	v_fmac_f32_e32 v35, 0x3f5db3d7, v36
	v_fmac_f32_e32 v27, 0xbf5db3d7, v36
	v_add_f32_e32 v36, v76, v51
	v_sub_f32_e32 v37, v52, v54
	v_mov_b32_e32 v40, v38
	v_sub_f32_e32 v42, v51, v53
	v_mov_b32_e32 v41, v39
	v_add_f32_e32 v43, v55, v57
	v_fma_f32 v49, -0.5, v49, v89
	v_add_f32_e32 v36, v36, v53
	v_fmac_f32_e32 v40, 0xbf5db3d7, v37
	v_fmac_f32_e32 v38, 0x3f5db3d7, v37
	v_add_f32_e32 v37, v77, v52
	v_fmac_f32_e32 v41, 0x3f5db3d7, v42
	v_fmac_f32_e32 v39, 0xbf5db3d7, v42
	v_add_f32_e32 v42, v78, v55
	v_fma_f32 v78, -0.5, v43, v78
	v_sub_f32_e32 v52, v59, v61
	v_mov_b32_e32 v51, v49
	v_add_f32_e32 v53, v63, v65
	v_add_f32_e32 v28, v28, v45
	v_sub_f32_e32 v43, v56, v58
	v_mov_b32_e32 v44, v78
	v_add_f32_e32 v45, v56, v58
	v_add_f32_e32 v47, v59, v61
	v_fmac_f32_e32 v51, 0x3f5db3d7, v52
	v_fmac_f32_e32 v49, 0xbf5db3d7, v52
	v_add_f32_e32 v52, v90, v63
	v_fma_f32 v90, -0.5, v53, v90
	v_add_f32_e32 v29, v29, v46
	v_add_f32_e32 v37, v37, v54
	v_fmac_f32_e32 v44, 0xbf5db3d7, v43
	v_fmac_f32_e32 v78, 0x3f5db3d7, v43
	v_add_f32_e32 v43, v79, v56
	v_fmac_f32_e32 v79, -0.5, v45
	v_sub_f32_e32 v46, v55, v57
	v_fma_f32 v48, -0.5, v47, v88
	v_sub_f32_e32 v53, v64, v66
	v_mov_b32_e32 v54, v90
	v_add_f32_e32 v55, v64, v66
	v_add_f32_e32 v33, v33, v50
	v_mov_b32_e32 v45, v79
	v_sub_f32_e32 v47, v60, v62
	v_mov_b32_e32 v50, v48
	v_fmac_f32_e32 v54, 0xbf5db3d7, v53
	v_fmac_f32_e32 v90, 0x3f5db3d7, v53
	v_add_f32_e32 v53, v91, v64
	v_fmac_f32_e32 v91, -0.5, v55
	v_fmac_f32_e32 v45, 0x3f5db3d7, v46
	v_fmac_f32_e32 v79, 0xbf5db3d7, v46
	v_add_f32_e32 v46, v88, v59
	v_fmac_f32_e32 v50, 0xbf5db3d7, v47
	v_fmac_f32_e32 v48, 0x3f5db3d7, v47
	v_add_f32_e32 v47, v89, v60
	v_sub_f32_e32 v56, v63, v65
	v_mov_b32_e32 v55, v91
	v_add_f32_e32 v42, v42, v57
	v_add_f32_e32 v43, v43, v58
	;; [unrolled: 1-line block ×6, first 2 shown]
	v_fmac_f32_e32 v55, 0x3f5db3d7, v56
	v_fmac_f32_e32 v91, 0xbf5db3d7, v56
	ds_write_b64 v168, v[6:7] offset:400
	ds_write_b64 v168, v[0:1] offset:800
	ds_write2_b64 v168, v[4:5], v[8:9] offset1:5
	ds_write2_b64 v168, v[10:11], v[18:19] offset0:55 offset1:60
	ds_write2_b64 v168, v[2:3], v[12:13] offset0:105 offset1:110
	;; [unrolled: 1-line block ×12, first 2 shown]
	ds_write_b64 v168, v[54:55] offset:760
	ds_write_b64 v168, v[90:91] offset:1160
	s_waitcnt lgkmcnt(0)
	; wave barrier
	s_waitcnt lgkmcnt(0)
	ds_read2_b64 v[12:15], v168 offset1:5
	v_mov_b32_e32 v0, v166
	v_mad_u64_u32 v[0:1], s[2:3], s3, v144, v[0:1]
	s_mov_b32 s2, 0xb4e81b4f
	s_waitcnt lgkmcnt(0)
	v_mul_f32_e32 v1, v164, v13
	v_fmac_f32_e32 v1, v163, v12
	v_cvt_f64_f32_e32 v[1:2], v1
	s_mov_b32 s3, 0x3f7b4e81
	v_mul_f32_e32 v3, v164, v12
	v_mad_u64_u32 v[5:6], s[6:7], s0, v171, 0
	v_mul_f64 v[1:2], v[1:2], s[2:3]
	v_fma_f32 v3, v163, v13, -v3
	v_cvt_f64_f32_e32 v[3:4], v3
	v_mov_b32_e32 v166, v0
	v_mov_b32_e32 v0, v6
	v_mul_f64 v[7:8], v[3:4], s[2:3]
	v_mov_b32_e32 v4, s5
	v_mad_u64_u32 v[9:10], s[6:7], s1, v171, v[0:1]
	v_cvt_f32_f64_e32 v10, v[1:2]
	ds_read2_b64 v[0:3], v168 offset0:10 offset1:15
	v_mov_b32_e32 v6, v9
	s_mul_hi_u32 s5, s0, 0x78
	v_cvt_f32_f64_e32 v11, v[7:8]
	v_lshlrev_b64 v[7:8], 3, v[165:166]
	s_waitcnt lgkmcnt(0)
	v_mul_f32_e32 v9, v156, v3
	v_fmac_f32_e32 v9, v155, v2
	v_mul_f32_e32 v2, v156, v2
	v_fma_f32 v2, v155, v3, -v2
	v_cvt_f64_f32_e32 v[16:17], v9
	v_cvt_f64_f32_e32 v[2:3], v2
	v_add_co_u32_e32 v12, vcc, s4, v7
	v_addc_co_u32_e32 v13, vcc, v4, v8, vcc
	v_lshlrev_b64 v[4:5], 3, v[5:6]
	v_mul_f64 v[6:7], v[16:17], s[2:3]
	v_mul_f64 v[2:3], v[2:3], s[2:3]
	ds_read2_b64 v[16:19], v168 offset0:30 offset1:35
	v_add_co_u32_e32 v8, vcc, v12, v4
	v_addc_co_u32_e32 v9, vcc, v13, v5, vcc
	global_store_dwordx2 v[8:9], v[10:11], off
	v_cvt_f32_f64_e32 v6, v[6:7]
	v_cvt_f32_f64_e32 v7, v[2:3]
	s_waitcnt lgkmcnt(0)
	v_mul_f32_e32 v2, v148, v17
	v_fmac_f32_e32 v2, v147, v16
	v_cvt_f64_f32_e32 v[2:3], v2
	s_mul_i32 s4, s1, 0x78
	s_add_i32 s4, s5, s4
	s_mul_i32 s5, s0, 0x78
	v_mul_f64 v[10:11], v[2:3], s[2:3]
	v_mul_f32_e32 v2, v148, v16
	v_fma_f32 v2, v147, v17, -v2
	v_cvt_f64_f32_e32 v[16:17], v2
	v_mov_b32_e32 v20, s4
	v_add_co_u32_e32 v8, vcc, s5, v8
	ds_read2_b64 v[2:5], v168 offset0:40 offset1:45
	v_addc_co_u32_e32 v9, vcc, v9, v20, vcc
	global_store_dwordx2 v[8:9], v[6:7], off
	v_mul_f64 v[6:7], v[16:17], s[2:3]
	v_cvt_f32_f64_e32 v10, v[10:11]
	s_waitcnt lgkmcnt(0)
	v_mul_f32_e32 v11, v143, v5
	v_fmac_f32_e32 v11, v142, v4
	v_mul_f32_e32 v4, v143, v4
	v_fma_f32 v4, v142, v5, -v4
	v_cvt_f64_f32_e32 v[4:5], v4
	ds_read2_b64 v[20:23], v168 offset0:60 offset1:65
	v_cvt_f64_f32_e32 v[16:17], v11
	v_cvt_f32_f64_e32 v11, v[6:7]
	v_mov_b32_e32 v24, s4
	v_add_co_u32_e32 v8, vcc, s5, v8
	v_mul_f64 v[4:5], v[4:5], s[2:3]
	v_addc_co_u32_e32 v9, vcc, v9, v24, vcc
	global_store_dwordx2 v[8:9], v[10:11], off
	s_waitcnt lgkmcnt(0)
	v_mul_f32_e32 v10, v137, v21
	v_mul_f64 v[6:7], v[16:17], s[2:3]
	v_fmac_f32_e32 v10, v136, v20
	v_cvt_f64_f32_e32 v[10:11], v10
	v_cvt_f32_f64_e32 v17, v[4:5]
	v_mul_f32_e32 v4, v137, v20
	v_fma_f32 v4, v136, v21, -v4
	v_mul_f64 v[10:11], v[10:11], s[2:3]
	v_cvt_f64_f32_e32 v[20:21], v4
	v_cvt_f32_f64_e32 v16, v[6:7]
	ds_read2_b64 v[4:7], v168 offset0:70 offset1:75
	v_add_co_u32_e32 v8, vcc, s5, v8
	v_addc_co_u32_e32 v9, vcc, v9, v24, vcc
	global_store_dwordx2 v[8:9], v[16:17], off
	v_mul_f64 v[16:17], v[20:21], s[2:3]
	v_cvt_f32_f64_e32 v10, v[10:11]
	s_waitcnt lgkmcnt(0)
	v_mul_f32_e32 v11, v135, v7
	v_fmac_f32_e32 v11, v134, v6
	v_mul_f32_e32 v6, v135, v6
	v_fma_f32 v6, v134, v7, -v6
	v_cvt_f64_f32_e32 v[6:7], v6
	v_cvt_f64_f32_e32 v[20:21], v11
	ds_read2_b64 v[24:27], v168 offset0:90 offset1:95
	v_cvt_f32_f64_e32 v11, v[16:17]
	v_mul_f64 v[6:7], v[6:7], s[2:3]
	v_mul_f64 v[16:17], v[20:21], s[2:3]
	v_add_co_u32_e32 v20, vcc, s5, v8
	s_waitcnt lgkmcnt(0)
	v_mul_f32_e32 v8, v139, v25
	v_mov_b32_e32 v28, s4
	v_fmac_f32_e32 v8, v138, v24
	v_addc_co_u32_e32 v21, vcc, v9, v28, vcc
	v_cvt_f64_f32_e32 v[8:9], v8
	global_store_dwordx2 v[20:21], v[10:11], off
	v_cvt_f32_f64_e32 v11, v[6:7]
	v_mul_f32_e32 v6, v139, v24
	v_cvt_f32_f64_e32 v10, v[16:17]
	v_mul_f64 v[16:17], v[8:9], s[2:3]
	v_fma_f32 v6, v138, v25, -v6
	v_cvt_f64_f32_e32 v[24:25], v6
	ds_read2_b64 v[6:9], v168 offset0:100 offset1:105
	v_add_co_u32_e32 v20, vcc, s5, v20
	v_addc_co_u32_e32 v21, vcc, v21, v28, vcc
	global_store_dwordx2 v[20:21], v[10:11], off
	v_mul_f64 v[10:11], v[24:25], s[2:3]
	v_cvt_f32_f64_e32 v16, v[16:17]
	s_waitcnt lgkmcnt(0)
	v_mul_f32_e32 v17, v133, v9
	v_fmac_f32_e32 v17, v132, v8
	v_mul_f32_e32 v8, v133, v8
	v_fma_f32 v8, v132, v9, -v8
	v_cvt_f64_f32_e32 v[24:25], v17
	v_cvt_f64_f32_e32 v[8:9], v8
	ds_read2_b64 v[28:31], v168 offset0:120 offset1:125
	v_cvt_f32_f64_e32 v17, v[10:11]
	v_mov_b32_e32 v32, s4
	v_mul_f64 v[10:11], v[24:25], s[2:3]
	v_mul_f64 v[8:9], v[8:9], s[2:3]
	v_add_co_u32_e32 v20, vcc, s5, v20
	v_addc_co_u32_e32 v21, vcc, v21, v32, vcc
	global_store_dwordx2 v[20:21], v[16:17], off
	s_waitcnt lgkmcnt(0)
	v_mul_f32_e32 v16, v129, v29
	v_fmac_f32_e32 v16, v128, v28
	v_cvt_f64_f32_e32 v[16:17], v16
	v_cvt_f32_f64_e32 v10, v[10:11]
	v_cvt_f32_f64_e32 v11, v[8:9]
	v_mov_b32_e32 v24, s4
	v_mul_f64 v[8:9], v[16:17], s[2:3]
	v_add_co_u32_e32 v20, vcc, s5, v20
	v_addc_co_u32_e32 v21, vcc, v21, v24, vcc
	global_store_dwordx2 v[20:21], v[10:11], off
	v_mul_f32_e32 v10, v129, v28
	v_fma_f32 v10, v128, v29, -v10
	v_cvt_f64_f32_e32 v[16:17], v10
	v_cvt_f32_f64_e32 v28, v[8:9]
	ds_read2_b64 v[8:11], v168 offset0:130 offset1:135
	v_mad_u64_u32 v[24:25], s[6:7], s0, v169, 0
	v_mul_f64 v[16:17], v[16:17], s[2:3]
	v_mad_u64_u32 v[32:33], s[6:7], s1, v169, v[25:26]
	s_waitcnt lgkmcnt(0)
	v_mul_f32_e32 v25, v131, v11
	v_fmac_f32_e32 v25, v130, v10
	v_mul_f32_e32 v10, v131, v10
	v_fma_f32 v10, v130, v11, -v10
	v_cvt_f64_f32_e32 v[10:11], v10
	v_cvt_f64_f32_e32 v[33:34], v25
	v_mov_b32_e32 v25, v32
	v_cvt_f32_f64_e32 v29, v[16:17]
	v_mul_f64 v[10:11], v[10:11], s[2:3]
	v_lshlrev_b64 v[24:25], 3, v[24:25]
	v_mul_f64 v[16:17], v[33:34], s[2:3]
	v_add_co_u32_e32 v24, vcc, v12, v24
	v_addc_co_u32_e32 v25, vcc, v13, v25, vcc
	global_store_dwordx2 v[24:25], v[28:29], off
	v_cvt_f32_f64_e32 v25, v[10:11]
	v_mul_f32_e32 v10, v127, v15
	v_fmac_f32_e32 v10, v126, v14
	v_mul_f32_e32 v14, v127, v14
	v_fma_f32 v14, v126, v15, -v14
	v_cvt_f64_f32_e32 v[14:15], v14
	v_cvt_f64_f32_e32 v[10:11], v10
	v_cvt_f32_f64_e32 v24, v[16:17]
	s_mul_i32 s6, s1, 0xf0
	v_mul_f64 v[28:29], v[14:15], s[2:3]
	ds_read2_b64 v[14:17], v168 offset0:20 offset1:25
	s_mul_hi_u32 s7, s0, 0xf0
	v_mul_f64 v[10:11], v[10:11], s[2:3]
	s_add_i32 s6, s7, s6
	s_mul_i32 s7, s0, 0xf0
	v_mov_b32_e32 v32, s6
	v_add_co_u32_e32 v20, vcc, s7, v20
	v_addc_co_u32_e32 v21, vcc, v21, v32, vcc
	global_store_dwordx2 v[20:21], v[24:25], off
	s_waitcnt lgkmcnt(0)
	v_mul_f32_e32 v24, v125, v15
	v_fmac_f32_e32 v24, v124, v14
	v_mul_f32_e32 v14, v125, v14
	v_fma_f32 v14, v124, v15, -v14
	v_cvt_f64_f32_e32 v[14:15], v14
	v_cvt_f32_f64_e32 v10, v[10:11]
	v_cvt_f32_f64_e32 v11, v[28:29]
	v_mad_u64_u32 v[28:29], s[8:9], s0, v167, v[20:21]
	v_cvt_f64_f32_e32 v[24:25], v24
	s_mul_i32 s8, s1, 0xfffffbf0
	v_mul_f64 v[14:15], v[14:15], s[2:3]
	s_sub_i32 s8, s8, s0
	v_add_u32_e32 v29, s8, v29
	global_store_dwordx2 v[28:29], v[10:11], off
	v_mul_f32_e32 v10, v154, v19
	v_mul_f64 v[20:21], v[24:25], s[2:3]
	v_fmac_f32_e32 v10, v153, v18
	v_cvt_f64_f32_e32 v[10:11], v10
	v_cvt_f32_f64_e32 v25, v[14:15]
	v_mul_f32_e32 v14, v154, v18
	v_fma_f32 v14, v153, v19, -v14
	v_mul_f64 v[10:11], v[10:11], s[2:3]
	v_cvt_f64_f32_e32 v[14:15], v14
	v_cvt_f32_f64_e32 v24, v[20:21]
	ds_read2_b64 v[18:21], v168 offset0:50 offset1:55
	v_mov_b32_e32 v32, s4
	v_mul_f64 v[14:15], v[14:15], s[2:3]
	v_add_co_u32_e32 v28, vcc, s5, v28
	v_cvt_f32_f64_e32 v10, v[10:11]
	s_waitcnt lgkmcnt(0)
	v_mul_f32_e32 v11, v152, v19
	v_addc_co_u32_e32 v29, vcc, v29, v32, vcc
	v_fmac_f32_e32 v11, v151, v18
	global_store_dwordx2 v[28:29], v[24:25], off
	v_cvt_f64_f32_e32 v[24:25], v11
	v_mul_f32_e32 v11, v152, v18
	v_fma_f32 v11, v151, v19, -v11
	v_cvt_f64_f32_e32 v[18:19], v11
	v_cvt_f32_f64_e32 v11, v[14:15]
	v_mul_f64 v[14:15], v[24:25], s[2:3]
	v_add_co_u32_e32 v28, vcc, s5, v28
	v_mul_f64 v[18:19], v[18:19], s[2:3]
	v_addc_co_u32_e32 v29, vcc, v29, v32, vcc
	global_store_dwordx2 v[28:29], v[10:11], off
	v_mul_f32_e32 v10, v160, v23
	v_fmac_f32_e32 v10, v159, v22
	v_cvt_f64_f32_e32 v[10:11], v10
	v_cvt_f32_f64_e32 v14, v[14:15]
	v_cvt_f32_f64_e32 v15, v[18:19]
	v_mul_f32_e32 v18, v160, v22
	v_mul_f64 v[10:11], v[10:11], s[2:3]
	v_fma_f32 v18, v159, v23, -v18
	v_cvt_f64_f32_e32 v[18:19], v18
	ds_read2_b64 v[22:25], v168 offset0:80 offset1:85
	v_add_co_u32_e32 v28, vcc, s5, v28
	v_addc_co_u32_e32 v29, vcc, v29, v32, vcc
	global_store_dwordx2 v[28:29], v[14:15], off
	v_mul_f64 v[14:15], v[18:19], s[2:3]
	v_cvt_f32_f64_e32 v10, v[10:11]
	s_waitcnt lgkmcnt(0)
	v_mul_f32_e32 v11, v158, v23
	v_fmac_f32_e32 v11, v157, v22
	v_cvt_f64_f32_e32 v[18:19], v11
	v_mul_f32_e32 v11, v158, v22
	v_fma_f32 v11, v157, v23, -v11
	v_cvt_f64_f32_e32 v[22:23], v11
	v_cvt_f32_f64_e32 v11, v[14:15]
	v_mul_f64 v[14:15], v[18:19], s[2:3]
	v_mul_f64 v[18:19], v[22:23], s[2:3]
	v_add_co_u32_e32 v22, vcc, s5, v28
	v_addc_co_u32_e32 v23, vcc, v29, v32, vcc
	v_mad_u64_u32 v[28:29], s[10:11], s0, v172, 0
	global_store_dwordx2 v[22:23], v[10:11], off
	v_cvt_f32_f64_e32 v10, v[14:15]
	v_mov_b32_e32 v14, v29
	v_mad_u64_u32 v[14:15], s[10:11], s1, v172, v[14:15]
	v_mul_f32_e32 v15, v146, v27
	v_fmac_f32_e32 v15, v145, v26
	v_cvt_f32_f64_e32 v11, v[18:19]
	v_cvt_f64_f32_e32 v[18:19], v15
	v_mul_f32_e32 v15, v146, v26
	v_fma_f32 v15, v145, v27, -v15
	v_cvt_f64_f32_e32 v[26:27], v15
	v_mov_b32_e32 v29, v14
	v_lshlrev_b64 v[14:15], 3, v[28:29]
	v_mul_f64 v[18:19], v[18:19], s[2:3]
	v_mul_f64 v[32:33], v[26:27], s[2:3]
	ds_read2_b64 v[26:29], v168 offset0:110 offset1:115
	v_add_co_u32_e32 v14, vcc, v12, v14
	v_addc_co_u32_e32 v15, vcc, v13, v15, vcc
	global_store_dwordx2 v[14:15], v[10:11], off
	s_waitcnt lgkmcnt(0)
	v_mul_f32_e32 v10, v141, v27
	v_fmac_f32_e32 v10, v140, v26
	v_cvt_f64_f32_e32 v[10:11], v10
	v_cvt_f32_f64_e32 v14, v[18:19]
	v_mul_f32_e32 v18, v141, v26
	v_fma_f32 v18, v140, v27, -v18
	v_mul_f64 v[10:11], v[10:11], s[2:3]
	v_cvt_f32_f64_e32 v15, v[32:33]
	v_cvt_f64_f32_e32 v[18:19], v18
	v_mov_b32_e32 v32, s6
	v_add_co_u32_e32 v22, vcc, s7, v22
	v_addc_co_u32_e32 v23, vcc, v23, v32, vcc
	global_store_dwordx2 v[22:23], v[14:15], off
	v_mul_f64 v[14:15], v[18:19], s[2:3]
	v_cvt_f32_f64_e32 v10, v[10:11]
	v_mul_f32_e32 v11, v150, v31
	v_fmac_f32_e32 v11, v149, v30
	v_cvt_f64_f32_e32 v[18:19], v11
	v_mul_f32_e32 v11, v150, v30
	v_fma_f32 v11, v149, v31, -v11
	v_cvt_f64_f32_e32 v[26:27], v11
	v_cvt_f32_f64_e32 v11, v[14:15]
	v_mul_f64 v[14:15], v[18:19], s[2:3]
	v_mov_b32_e32 v30, s4
	v_add_co_u32_e32 v22, vcc, s5, v22
	v_addc_co_u32_e32 v23, vcc, v23, v30, vcc
	ds_read2_b64 v[30:33], v168 offset0:140 offset1:145
	global_store_dwordx2 v[22:23], v[10:11], off
	v_cvt_f32_f64_e32 v10, v[14:15]
	v_mul_f64 v[18:19], v[26:27], s[2:3]
	v_mov_b32_e32 v26, s4
	s_waitcnt lgkmcnt(0)
	v_mul_f32_e32 v14, v162, v31
	v_fmac_f32_e32 v14, v161, v30
	v_cvt_f64_f32_e32 v[14:15], v14
	v_add_co_u32_e32 v22, vcc, s5, v22
	v_addc_co_u32_e32 v23, vcc, v23, v26, vcc
	v_mul_f64 v[14:15], v[14:15], s[2:3]
	v_mul_f32_e32 v26, v117, v1
	v_fmac_f32_e32 v26, v116, v0
	v_mul_f32_e32 v0, v117, v0
	v_fma_f32 v0, v116, v1, -v0
	v_cvt_f32_f64_e32 v11, v[18:19]
	v_cvt_f64_f32_e32 v[26:27], v26
	v_cvt_f64_f32_e32 v[0:1], v0
	v_mul_f32_e32 v18, v162, v30
	v_fma_f32 v18, v161, v31, -v18
	v_cvt_f64_f32_e32 v[18:19], v18
	global_store_dwordx2 v[22:23], v[10:11], off
	v_cvt_f32_f64_e32 v10, v[14:15]
	v_mul_f64 v[14:15], v[26:27], s[2:3]
	v_mul_f64 v[0:1], v[0:1], s[2:3]
	;; [unrolled: 1-line block ×3, first 2 shown]
	v_cvt_f32_f64_e32 v14, v[14:15]
	v_cvt_f32_f64_e32 v15, v[0:1]
	v_mul_f32_e32 v0, v119, v17
	v_fmac_f32_e32 v0, v118, v16
	v_mul_f32_e32 v16, v119, v16
	v_fma_f32 v16, v118, v17, -v16
	v_cvt_f32_f64_e32 v11, v[18:19]
	v_cvt_f64_f32_e32 v[0:1], v0
	v_cvt_f64_f32_e32 v[16:17], v16
	v_mov_b32_e32 v19, s4
	v_add_co_u32_e32 v18, vcc, s5, v22
	v_addc_co_u32_e32 v19, vcc, v23, v19, vcc
	v_mul_f64 v[0:1], v[0:1], s[2:3]
	v_mul_f64 v[16:17], v[16:17], s[2:3]
	global_store_dwordx2 v[18:19], v[10:11], off
	v_mul_f32_e32 v10, v121, v3
	v_fmac_f32_e32 v10, v120, v2
	v_cvt_f64_f32_e32 v[10:11], v10
	v_mad_u64_u32 v[22:23], s[10:11], s0, v167, v[18:19]
	v_mul_f32_e32 v2, v121, v2
	v_mul_f64 v[10:11], v[10:11], s[2:3]
	v_fma_f32 v2, v120, v3, -v2
	v_cvt_f32_f64_e32 v0, v[0:1]
	v_cvt_f32_f64_e32 v1, v[16:17]
	v_cvt_f64_f32_e32 v[2:3], v2
	v_add_u32_e32 v23, s8, v23
	v_mad_u64_u32 v[16:17], s[8:9], s0, v170, 0
	global_store_dwordx2 v[22:23], v[14:15], off
	v_mov_b32_e32 v15, s4
	v_add_co_u32_e32 v14, vcc, s5, v22
	v_addc_co_u32_e32 v15, vcc, v23, v15, vcc
	global_store_dwordx2 v[14:15], v[0:1], off
	v_mul_f64 v[1:2], v[2:3], s[2:3]
	v_mov_b32_e32 v3, v17
	v_cvt_f32_f64_e32 v0, v[10:11]
	v_mad_u64_u32 v[10:11], s[0:1], s1, v170, v[3:4]
	v_mul_f32_e32 v3, v113, v21
	v_fmac_f32_e32 v3, v112, v20
	v_cvt_f64_f32_e32 v[18:19], v3
	v_mul_f32_e32 v3, v113, v20
	v_fma_f32 v3, v112, v21, -v3
	v_cvt_f64_f32_e32 v[20:21], v3
	v_cvt_f32_f64_e32 v1, v[1:2]
	v_mul_f64 v[2:3], v[18:19], s[2:3]
	v_mov_b32_e32 v17, v10
	v_mul_f64 v[10:11], v[20:21], s[2:3]
	v_lshlrev_b64 v[16:17], 3, v[16:17]
	v_add_co_u32_e32 v12, vcc, v12, v16
	v_addc_co_u32_e32 v13, vcc, v13, v17, vcc
	global_store_dwordx2 v[12:13], v[0:1], off
	v_cvt_f32_f64_e32 v0, v[2:3]
	v_mul_f32_e32 v2, v109, v5
	v_fmac_f32_e32 v2, v108, v4
	v_mul_f32_e32 v4, v109, v4
	v_fma_f32 v4, v108, v5, -v4
	v_cvt_f32_f64_e32 v1, v[10:11]
	v_cvt_f64_f32_e32 v[2:3], v2
	v_cvt_f64_f32_e32 v[4:5], v4
	v_mov_b32_e32 v11, s6
	v_add_co_u32_e32 v10, vcc, s7, v14
	v_addc_co_u32_e32 v11, vcc, v15, v11, vcc
	global_store_dwordx2 v[10:11], v[0:1], off
	v_mul_f64 v[0:1], v[2:3], s[2:3]
	v_mul_f64 v[2:3], v[4:5], s[2:3]
	v_mul_f32_e32 v4, v111, v25
	v_mul_f32_e32 v12, v111, v24
	v_fmac_f32_e32 v4, v110, v24
	v_fma_f32 v12, v110, v25, -v12
	v_cvt_f64_f32_e32 v[4:5], v4
	v_cvt_f64_f32_e32 v[12:13], v12
	v_cvt_f32_f64_e32 v0, v[0:1]
	v_cvt_f32_f64_e32 v1, v[2:3]
	v_mul_f64 v[2:3], v[4:5], s[2:3]
	v_mul_f64 v[4:5], v[12:13], s[2:3]
	v_mov_b32_e32 v12, s4
	v_add_co_u32_e32 v10, vcc, s5, v10
	v_addc_co_u32_e32 v11, vcc, v11, v12, vcc
	global_store_dwordx2 v[10:11], v[0:1], off
	v_cvt_f32_f64_e32 v0, v[2:3]
	v_cvt_f32_f64_e32 v1, v[4:5]
	v_mul_f32_e32 v2, v115, v7
	v_mul_f32_e32 v4, v115, v6
	v_fmac_f32_e32 v2, v114, v6
	v_fma_f32 v4, v114, v7, -v4
	v_cvt_f64_f32_e32 v[2:3], v2
	v_cvt_f64_f32_e32 v[4:5], v4
	v_add_co_u32_e32 v6, vcc, s5, v10
	v_addc_co_u32_e32 v7, vcc, v11, v12, vcc
	global_store_dwordx2 v[6:7], v[0:1], off
	v_mul_f64 v[0:1], v[2:3], s[2:3]
	v_mul_f64 v[2:3], v[4:5], s[2:3]
	v_mul_f32_e32 v4, v107, v29
	v_mul_f32_e32 v10, v107, v28
	v_fmac_f32_e32 v4, v106, v28
	v_fma_f32 v10, v106, v29, -v10
	v_cvt_f64_f32_e32 v[4:5], v4
	v_cvt_f64_f32_e32 v[10:11], v10
	v_cvt_f32_f64_e32 v0, v[0:1]
	v_cvt_f32_f64_e32 v1, v[2:3]
	v_mul_f64 v[2:3], v[4:5], s[2:3]
	v_mul_f64 v[4:5], v[10:11], s[2:3]
	v_mov_b32_e32 v10, s4
	v_add_co_u32_e32 v6, vcc, s5, v6
	v_addc_co_u32_e32 v7, vcc, v7, v10, vcc
	global_store_dwordx2 v[6:7], v[0:1], off
	v_cvt_f32_f64_e32 v0, v[2:3]
	v_cvt_f32_f64_e32 v1, v[4:5]
	v_mul_f32_e32 v2, v105, v9
	v_mul_f32_e32 v4, v105, v8
	v_fmac_f32_e32 v2, v104, v8
	v_fma_f32 v4, v104, v9, -v4
	v_cvt_f64_f32_e32 v[2:3], v2
	v_cvt_f64_f32_e32 v[4:5], v4
	v_add_co_u32_e32 v6, vcc, s5, v6
	v_addc_co_u32_e32 v7, vcc, v7, v10, vcc
	global_store_dwordx2 v[6:7], v[0:1], off
	v_mul_f64 v[0:1], v[2:3], s[2:3]
	v_mul_f64 v[2:3], v[4:5], s[2:3]
	v_mul_f32_e32 v4, v123, v33
	v_mul_f32_e32 v8, v123, v32
	v_fmac_f32_e32 v4, v122, v32
	v_fma_f32 v8, v122, v33, -v8
	v_cvt_f64_f32_e32 v[4:5], v4
	v_cvt_f64_f32_e32 v[8:9], v8
	v_cvt_f32_f64_e32 v0, v[0:1]
	v_cvt_f32_f64_e32 v1, v[2:3]
	v_mul_f64 v[2:3], v[4:5], s[2:3]
	v_mul_f64 v[4:5], v[8:9], s[2:3]
	v_mov_b32_e32 v8, s4
	v_add_co_u32_e32 v6, vcc, s5, v6
	v_addc_co_u32_e32 v7, vcc, v7, v8, vcc
	global_store_dwordx2 v[6:7], v[0:1], off
	v_cvt_f32_f64_e32 v0, v[2:3]
	v_cvt_f32_f64_e32 v1, v[4:5]
	v_mov_b32_e32 v3, s4
	v_add_co_u32_e32 v2, vcc, s5, v6
	v_addc_co_u32_e32 v3, vcc, v7, v3, vcc
	global_store_dwordx2 v[2:3], v[0:1], off
.LBB0_2:
	s_endpgm
	.section	.rodata,"a",@progbits
	.p2align	6, 0x0
	.amdhsa_kernel bluestein_single_back_len150_dim1_sp_op_CI_CI
		.amdhsa_group_segment_fixed_size 14400
		.amdhsa_private_segment_fixed_size 0
		.amdhsa_kernarg_size 104
		.amdhsa_user_sgpr_count 6
		.amdhsa_user_sgpr_private_segment_buffer 1
		.amdhsa_user_sgpr_dispatch_ptr 0
		.amdhsa_user_sgpr_queue_ptr 0
		.amdhsa_user_sgpr_kernarg_segment_ptr 1
		.amdhsa_user_sgpr_dispatch_id 0
		.amdhsa_user_sgpr_flat_scratch_init 0
		.amdhsa_user_sgpr_private_segment_size 0
		.amdhsa_uses_dynamic_stack 0
		.amdhsa_system_sgpr_private_segment_wavefront_offset 0
		.amdhsa_system_sgpr_workgroup_id_x 1
		.amdhsa_system_sgpr_workgroup_id_y 0
		.amdhsa_system_sgpr_workgroup_id_z 0
		.amdhsa_system_sgpr_workgroup_info 0
		.amdhsa_system_vgpr_workitem_id 0
		.amdhsa_next_free_vgpr 236
		.amdhsa_next_free_sgpr 22
		.amdhsa_reserve_vcc 1
		.amdhsa_reserve_flat_scratch 0
		.amdhsa_float_round_mode_32 0
		.amdhsa_float_round_mode_16_64 0
		.amdhsa_float_denorm_mode_32 3
		.amdhsa_float_denorm_mode_16_64 3
		.amdhsa_dx10_clamp 1
		.amdhsa_ieee_mode 1
		.amdhsa_fp16_overflow 0
		.amdhsa_exception_fp_ieee_invalid_op 0
		.amdhsa_exception_fp_denorm_src 0
		.amdhsa_exception_fp_ieee_div_zero 0
		.amdhsa_exception_fp_ieee_overflow 0
		.amdhsa_exception_fp_ieee_underflow 0
		.amdhsa_exception_fp_ieee_inexact 0
		.amdhsa_exception_int_div_zero 0
	.end_amdhsa_kernel
	.text
.Lfunc_end0:
	.size	bluestein_single_back_len150_dim1_sp_op_CI_CI, .Lfunc_end0-bluestein_single_back_len150_dim1_sp_op_CI_CI
                                        ; -- End function
	.section	.AMDGPU.csdata,"",@progbits
; Kernel info:
; codeLenInByte = 21132
; NumSgprs: 26
; NumVgprs: 236
; ScratchSize: 0
; MemoryBound: 0
; FloatMode: 240
; IeeeMode: 1
; LDSByteSize: 14400 bytes/workgroup (compile time only)
; SGPRBlocks: 3
; VGPRBlocks: 58
; NumSGPRsForWavesPerEU: 26
; NumVGPRsForWavesPerEU: 236
; Occupancy: 1
; WaveLimiterHint : 1
; COMPUTE_PGM_RSRC2:SCRATCH_EN: 0
; COMPUTE_PGM_RSRC2:USER_SGPR: 6
; COMPUTE_PGM_RSRC2:TRAP_HANDLER: 0
; COMPUTE_PGM_RSRC2:TGID_X_EN: 1
; COMPUTE_PGM_RSRC2:TGID_Y_EN: 0
; COMPUTE_PGM_RSRC2:TGID_Z_EN: 0
; COMPUTE_PGM_RSRC2:TIDIG_COMP_CNT: 0
	.type	__hip_cuid_3789f5f50415b666,@object ; @__hip_cuid_3789f5f50415b666
	.section	.bss,"aw",@nobits
	.globl	__hip_cuid_3789f5f50415b666
__hip_cuid_3789f5f50415b666:
	.byte	0                               ; 0x0
	.size	__hip_cuid_3789f5f50415b666, 1

	.ident	"AMD clang version 19.0.0git (https://github.com/RadeonOpenCompute/llvm-project roc-6.4.0 25133 c7fe45cf4b819c5991fe208aaa96edf142730f1d)"
	.section	".note.GNU-stack","",@progbits
	.addrsig
	.addrsig_sym __hip_cuid_3789f5f50415b666
	.amdgpu_metadata
---
amdhsa.kernels:
  - .args:
      - .actual_access:  read_only
        .address_space:  global
        .offset:         0
        .size:           8
        .value_kind:     global_buffer
      - .actual_access:  read_only
        .address_space:  global
        .offset:         8
        .size:           8
        .value_kind:     global_buffer
      - .actual_access:  read_only
        .address_space:  global
        .offset:         16
        .size:           8
        .value_kind:     global_buffer
      - .actual_access:  read_only
        .address_space:  global
        .offset:         24
        .size:           8
        .value_kind:     global_buffer
      - .actual_access:  read_only
        .address_space:  global
        .offset:         32
        .size:           8
        .value_kind:     global_buffer
      - .offset:         40
        .size:           8
        .value_kind:     by_value
      - .address_space:  global
        .offset:         48
        .size:           8
        .value_kind:     global_buffer
      - .address_space:  global
        .offset:         56
        .size:           8
        .value_kind:     global_buffer
      - .address_space:  global
        .offset:         64
        .size:           8
        .value_kind:     global_buffer
      - .address_space:  global
        .offset:         72
        .size:           8
        .value_kind:     global_buffer
      - .offset:         80
        .size:           4
        .value_kind:     by_value
      - .address_space:  global
        .offset:         88
        .size:           8
        .value_kind:     global_buffer
      - .address_space:  global
        .offset:         96
        .size:           8
        .value_kind:     global_buffer
    .group_segment_fixed_size: 14400
    .kernarg_segment_align: 8
    .kernarg_segment_size: 104
    .language:       OpenCL C
    .language_version:
      - 2
      - 0
    .max_flat_workgroup_size: 60
    .name:           bluestein_single_back_len150_dim1_sp_op_CI_CI
    .private_segment_fixed_size: 0
    .sgpr_count:     26
    .sgpr_spill_count: 0
    .symbol:         bluestein_single_back_len150_dim1_sp_op_CI_CI.kd
    .uniform_work_group_size: 1
    .uses_dynamic_stack: false
    .vgpr_count:     236
    .vgpr_spill_count: 0
    .wavefront_size: 64
amdhsa.target:   amdgcn-amd-amdhsa--gfx906
amdhsa.version:
  - 1
  - 2
...

	.end_amdgpu_metadata
